;; amdgpu-corpus repo=ROCm/rocFFT kind=compiled arch=gfx906 opt=O3
	.text
	.amdgcn_target "amdgcn-amd-amdhsa--gfx906"
	.amdhsa_code_object_version 6
	.protected	fft_rtc_fwd_len884_factors_13_4_17_wgs_204_tpt_68_halfLds_dp_ip_CI_unitstride_sbrr_C2R_dirReg ; -- Begin function fft_rtc_fwd_len884_factors_13_4_17_wgs_204_tpt_68_halfLds_dp_ip_CI_unitstride_sbrr_C2R_dirReg
	.globl	fft_rtc_fwd_len884_factors_13_4_17_wgs_204_tpt_68_halfLds_dp_ip_CI_unitstride_sbrr_C2R_dirReg
	.p2align	8
	.type	fft_rtc_fwd_len884_factors_13_4_17_wgs_204_tpt_68_halfLds_dp_ip_CI_unitstride_sbrr_C2R_dirReg,@function
fft_rtc_fwd_len884_factors_13_4_17_wgs_204_tpt_68_halfLds_dp_ip_CI_unitstride_sbrr_C2R_dirReg: ; @fft_rtc_fwd_len884_factors_13_4_17_wgs_204_tpt_68_halfLds_dp_ip_CI_unitstride_sbrr_C2R_dirReg
; %bb.0:
	s_load_dwordx2 s[2:3], s[4:5], 0x50
	s_load_dwordx4 s[8:11], s[4:5], 0x0
	s_load_dwordx2 s[12:13], s[4:5], 0x18
	v_mul_u32_u24_e32 v1, 0x3c4, v0
	v_lshrrev_b32_e32 v1, 16, v1
	v_mad_u64_u32 v[1:2], s[0:1], s6, 3, v[1:2]
	v_mov_b32_e32 v5, 0
	s_waitcnt lgkmcnt(0)
	v_cmp_lt_u64_e64 s[0:1], s[10:11], 2
	v_mov_b32_e32 v2, v5
	v_mov_b32_e32 v3, 0
	;; [unrolled: 1-line block ×3, first 2 shown]
	s_and_b64 vcc, exec, s[0:1]
	v_mov_b32_e32 v4, 0
	v_mov_b32_e32 v9, v1
	s_cbranch_vccnz .LBB0_8
; %bb.1:
	s_load_dwordx2 s[0:1], s[4:5], 0x10
	s_add_u32 s6, s12, 8
	s_addc_u32 s7, s13, 0
	v_mov_b32_e32 v3, 0
	v_mov_b32_e32 v8, v2
	s_waitcnt lgkmcnt(0)
	s_add_u32 s16, s0, 8
	s_mov_b64 s[14:15], 1
	v_mov_b32_e32 v4, 0
	s_addc_u32 s17, s1, 0
	v_mov_b32_e32 v7, v1
.LBB0_2:                                ; =>This Inner Loop Header: Depth=1
	s_load_dwordx2 s[18:19], s[16:17], 0x0
                                        ; implicit-def: $vgpr9_vgpr10
	s_waitcnt lgkmcnt(0)
	v_or_b32_e32 v6, s19, v8
	v_cmp_ne_u64_e32 vcc, 0, v[5:6]
	s_and_saveexec_b64 s[0:1], vcc
	s_xor_b64 s[20:21], exec, s[0:1]
	s_cbranch_execz .LBB0_4
; %bb.3:                                ;   in Loop: Header=BB0_2 Depth=1
	v_cvt_f32_u32_e32 v2, s18
	v_cvt_f32_u32_e32 v6, s19
	s_sub_u32 s0, 0, s18
	s_subb_u32 s1, 0, s19
	v_mac_f32_e32 v2, 0x4f800000, v6
	v_rcp_f32_e32 v2, v2
	v_mul_f32_e32 v2, 0x5f7ffffc, v2
	v_mul_f32_e32 v6, 0x2f800000, v2
	v_trunc_f32_e32 v6, v6
	v_mac_f32_e32 v2, 0xcf800000, v6
	v_cvt_u32_f32_e32 v6, v6
	v_cvt_u32_f32_e32 v2, v2
	v_mul_lo_u32 v9, s0, v6
	v_mul_hi_u32 v10, s0, v2
	v_mul_lo_u32 v12, s1, v2
	v_mul_lo_u32 v11, s0, v2
	v_add_u32_e32 v9, v10, v9
	v_add_u32_e32 v9, v9, v12
	v_mul_hi_u32 v10, v2, v11
	v_mul_lo_u32 v12, v2, v9
	v_mul_hi_u32 v14, v2, v9
	v_mul_hi_u32 v13, v6, v11
	v_mul_lo_u32 v11, v6, v11
	v_mul_hi_u32 v15, v6, v9
	v_add_co_u32_e32 v10, vcc, v10, v12
	v_addc_co_u32_e32 v12, vcc, 0, v14, vcc
	v_mul_lo_u32 v9, v6, v9
	v_add_co_u32_e32 v10, vcc, v10, v11
	v_addc_co_u32_e32 v10, vcc, v12, v13, vcc
	v_addc_co_u32_e32 v11, vcc, 0, v15, vcc
	v_add_co_u32_e32 v9, vcc, v10, v9
	v_addc_co_u32_e32 v10, vcc, 0, v11, vcc
	v_add_co_u32_e32 v2, vcc, v2, v9
	v_addc_co_u32_e32 v6, vcc, v6, v10, vcc
	v_mul_lo_u32 v9, s0, v6
	v_mul_hi_u32 v10, s0, v2
	v_mul_lo_u32 v11, s1, v2
	v_mul_lo_u32 v12, s0, v2
	v_add_u32_e32 v9, v10, v9
	v_add_u32_e32 v9, v9, v11
	v_mul_lo_u32 v13, v2, v9
	v_mul_hi_u32 v14, v2, v12
	v_mul_hi_u32 v15, v2, v9
	;; [unrolled: 1-line block ×3, first 2 shown]
	v_mul_lo_u32 v12, v6, v12
	v_mul_hi_u32 v10, v6, v9
	v_add_co_u32_e32 v13, vcc, v14, v13
	v_addc_co_u32_e32 v14, vcc, 0, v15, vcc
	v_mul_lo_u32 v9, v6, v9
	v_add_co_u32_e32 v12, vcc, v13, v12
	v_addc_co_u32_e32 v11, vcc, v14, v11, vcc
	v_addc_co_u32_e32 v10, vcc, 0, v10, vcc
	v_add_co_u32_e32 v9, vcc, v11, v9
	v_addc_co_u32_e32 v10, vcc, 0, v10, vcc
	v_add_co_u32_e32 v2, vcc, v2, v9
	v_addc_co_u32_e32 v6, vcc, v6, v10, vcc
	v_mad_u64_u32 v[9:10], s[0:1], v7, v6, 0
	v_mul_hi_u32 v11, v7, v2
	v_add_co_u32_e32 v13, vcc, v11, v9
	v_addc_co_u32_e32 v14, vcc, 0, v10, vcc
	v_mad_u64_u32 v[9:10], s[0:1], v8, v2, 0
	v_mad_u64_u32 v[11:12], s[0:1], v8, v6, 0
	v_add_co_u32_e32 v2, vcc, v13, v9
	v_addc_co_u32_e32 v2, vcc, v14, v10, vcc
	v_addc_co_u32_e32 v6, vcc, 0, v12, vcc
	v_add_co_u32_e32 v2, vcc, v2, v11
	v_addc_co_u32_e32 v6, vcc, 0, v6, vcc
	v_mul_lo_u32 v11, s19, v2
	v_mul_lo_u32 v12, s18, v6
	v_mad_u64_u32 v[9:10], s[0:1], s18, v2, 0
	v_add3_u32 v10, v10, v12, v11
	v_sub_u32_e32 v11, v8, v10
	v_mov_b32_e32 v12, s19
	v_sub_co_u32_e32 v9, vcc, v7, v9
	v_subb_co_u32_e64 v11, s[0:1], v11, v12, vcc
	v_subrev_co_u32_e64 v12, s[0:1], s18, v9
	v_subbrev_co_u32_e64 v11, s[0:1], 0, v11, s[0:1]
	v_cmp_le_u32_e64 s[0:1], s19, v11
	v_cndmask_b32_e64 v13, 0, -1, s[0:1]
	v_cmp_le_u32_e64 s[0:1], s18, v12
	v_cndmask_b32_e64 v12, 0, -1, s[0:1]
	v_cmp_eq_u32_e64 s[0:1], s19, v11
	v_cndmask_b32_e64 v11, v13, v12, s[0:1]
	v_add_co_u32_e64 v12, s[0:1], 2, v2
	v_addc_co_u32_e64 v13, s[0:1], 0, v6, s[0:1]
	v_add_co_u32_e64 v14, s[0:1], 1, v2
	v_addc_co_u32_e64 v15, s[0:1], 0, v6, s[0:1]
	v_subb_co_u32_e32 v10, vcc, v8, v10, vcc
	v_cmp_ne_u32_e64 s[0:1], 0, v11
	v_cmp_le_u32_e32 vcc, s19, v10
	v_cndmask_b32_e64 v11, v15, v13, s[0:1]
	v_cndmask_b32_e64 v13, 0, -1, vcc
	v_cmp_le_u32_e32 vcc, s18, v9
	v_cndmask_b32_e64 v9, 0, -1, vcc
	v_cmp_eq_u32_e32 vcc, s19, v10
	v_cndmask_b32_e32 v9, v13, v9, vcc
	v_cmp_ne_u32_e32 vcc, 0, v9
	v_cndmask_b32_e32 v10, v6, v11, vcc
	v_cndmask_b32_e64 v6, v14, v12, s[0:1]
	v_cndmask_b32_e32 v9, v2, v6, vcc
.LBB0_4:                                ;   in Loop: Header=BB0_2 Depth=1
	s_andn2_saveexec_b64 s[0:1], s[20:21]
	s_cbranch_execz .LBB0_6
; %bb.5:                                ;   in Loop: Header=BB0_2 Depth=1
	v_cvt_f32_u32_e32 v2, s18
	s_sub_i32 s20, 0, s18
	v_rcp_iflag_f32_e32 v2, v2
	v_mul_f32_e32 v2, 0x4f7ffffe, v2
	v_cvt_u32_f32_e32 v2, v2
	v_mul_lo_u32 v6, s20, v2
	v_mul_hi_u32 v6, v2, v6
	v_add_u32_e32 v2, v2, v6
	v_mul_hi_u32 v2, v7, v2
	v_mul_lo_u32 v6, v2, s18
	v_add_u32_e32 v9, 1, v2
	v_sub_u32_e32 v6, v7, v6
	v_subrev_u32_e32 v10, s18, v6
	v_cmp_le_u32_e32 vcc, s18, v6
	v_cndmask_b32_e32 v6, v6, v10, vcc
	v_cndmask_b32_e32 v2, v2, v9, vcc
	v_add_u32_e32 v9, 1, v2
	v_cmp_le_u32_e32 vcc, s18, v6
	v_cndmask_b32_e32 v9, v2, v9, vcc
	v_mov_b32_e32 v10, v5
.LBB0_6:                                ;   in Loop: Header=BB0_2 Depth=1
	s_or_b64 exec, exec, s[0:1]
	v_mul_lo_u32 v2, v10, s18
	v_mul_lo_u32 v6, v9, s19
	v_mad_u64_u32 v[11:12], s[0:1], v9, s18, 0
	s_load_dwordx2 s[0:1], s[6:7], 0x0
	s_add_u32 s14, s14, 1
	v_add3_u32 v2, v12, v6, v2
	v_sub_co_u32_e32 v6, vcc, v7, v11
	v_subb_co_u32_e32 v2, vcc, v8, v2, vcc
	s_waitcnt lgkmcnt(0)
	v_mul_lo_u32 v2, s0, v2
	v_mul_lo_u32 v7, s1, v6
	v_mad_u64_u32 v[3:4], s[0:1], s0, v6, v[3:4]
	s_addc_u32 s15, s15, 0
	s_add_u32 s6, s6, 8
	v_add3_u32 v4, v7, v4, v2
	v_mov_b32_e32 v6, s10
	v_mov_b32_e32 v7, s11
	s_addc_u32 s7, s7, 0
	v_cmp_ge_u64_e32 vcc, s[14:15], v[6:7]
	s_add_u32 s16, s16, 8
	s_addc_u32 s17, s17, 0
	s_cbranch_vccnz .LBB0_8
; %bb.7:                                ;   in Loop: Header=BB0_2 Depth=1
	v_mov_b32_e32 v7, v9
	v_mov_b32_e32 v8, v10
	s_branch .LBB0_2
.LBB0_8:
	s_lshl_b64 s[0:1], s[10:11], 3
	s_add_u32 s0, s12, s0
	s_addc_u32 s1, s13, s1
	s_load_dwordx2 s[0:1], s[0:1], 0x0
	s_mov_b32 s6, 0xaaaaaaab
	v_mul_hi_u32 v5, v1, s6
	s_waitcnt lgkmcnt(0)
	v_mul_lo_u32 v6, s0, v10
	v_mul_lo_u32 v7, s1, v9
	v_mad_u64_u32 v[2:3], s[0:1], s0, v9, v[3:4]
	s_load_dwordx2 s[0:1], s[4:5], 0x20
	s_mov_b32 s4, 0x3c3c3c4
	v_lshrrev_b32_e32 v4, 1, v5
	v_mul_hi_u32 v5, v0, s4
	v_lshl_add_u32 v4, v4, 1, v4
	v_add3_u32 v3, v7, v3, v6
	v_sub_u32_e32 v1, v1, v4
	v_mul_u32_u24_e32 v1, 0x375, v1
	s_waitcnt lgkmcnt(0)
	v_cmp_gt_u64_e64 s[0:1], s[0:1], v[9:10]
	v_mul_u32_u24_e32 v4, 0x44, v5
	v_lshlrev_b64 v[94:95], 4, v[2:3]
	v_sub_u32_e32 v92, v0, v4
	v_lshlrev_b32_e32 v64, 4, v1
	s_and_saveexec_b64 s[4:5], s[0:1]
	s_cbranch_execz .LBB0_12
; %bb.9:
	v_mov_b32_e32 v93, 0
	v_mov_b32_e32 v0, s3
	v_add_co_u32_e32 v2, vcc, s2, v94
	v_lshlrev_b64 v[3:4], 4, v[92:93]
	v_addc_co_u32_e32 v0, vcc, v0, v95, vcc
	v_add_co_u32_e32 v51, vcc, v2, v3
	v_addc_co_u32_e32 v52, vcc, v0, v4, vcc
	s_movk_i32 s6, 0x1000
	v_add_co_u32_e32 v36, vcc, s6, v51
	v_addc_co_u32_e32 v37, vcc, 0, v52, vcc
	s_movk_i32 s6, 0x2000
	v_add_co_u32_e32 v53, vcc, s6, v51
	v_addc_co_u32_e32 v54, vcc, 0, v52, vcc
	global_load_dwordx4 v[4:7], v[51:52], off
	global_load_dwordx4 v[8:11], v[51:52], off offset:1088
	global_load_dwordx4 v[12:15], v[51:52], off offset:2176
	;; [unrolled: 1-line block ×7, first 2 shown]
	s_nop 0
	global_load_dwordx4 v[36:39], v[53:54], off offset:512
	global_load_dwordx4 v[40:43], v[53:54], off offset:1600
	v_add_co_u32_e32 v55, vcc, 0x3000, v51
	global_load_dwordx4 v[44:47], v[53:54], off offset:2688
	global_load_dwordx4 v[48:51], v[53:54], off offset:3776
	v_addc_co_u32_e32 v56, vcc, 0, v52, vcc
	global_load_dwordx4 v[52:55], v[55:56], off offset:768
	v_lshlrev_b32_e32 v3, 4, v92
	s_movk_i32 s6, 0x43
	v_add3_u32 v3, 0, v64, v3
	v_cmp_eq_u32_e32 vcc, s6, v92
	s_waitcnt vmcnt(12)
	ds_write_b128 v3, v[4:7]
	s_waitcnt vmcnt(11)
	ds_write_b128 v3, v[8:11] offset:1088
	s_waitcnt vmcnt(10)
	ds_write_b128 v3, v[12:15] offset:2176
	;; [unrolled: 2-line block ×12, first 2 shown]
	s_and_saveexec_b64 s[6:7], vcc
	s_cbranch_execz .LBB0_11
; %bb.10:
	v_add_co_u32_e32 v4, vcc, 0x3000, v2
	v_addc_co_u32_e32 v5, vcc, 0, v0, vcc
	global_load_dwordx4 v[4:7], v[4:5], off offset:1856
	v_mov_b32_e32 v92, 0x43
	s_waitcnt vmcnt(0)
	ds_write_b128 v3, v[4:7] offset:13072
.LBB0_11:
	s_or_b64 exec, exec, s[6:7]
.LBB0_12:
	s_or_b64 exec, exec, s[4:5]
	v_lshl_add_u32 v182, v1, 4, 0
	v_lshlrev_b32_e32 v68, 4, v92
	v_add_u32_e32 v183, v182, v68
	s_waitcnt lgkmcnt(0)
	s_barrier
	v_sub_u32_e32 v10, v182, v68
	ds_read_b64 v[6:7], v183
	ds_read_b64 v[8:9], v10 offset:14144
	s_add_u32 s6, s8, 0x3670
	s_addc_u32 s7, s9, 0
	v_cmp_ne_u32_e32 vcc, 0, v92
                                        ; implicit-def: $vgpr4_vgpr5
	s_waitcnt lgkmcnt(0)
	v_add_f64 v[0:1], v[6:7], v[8:9]
	v_add_f64 v[2:3], v[6:7], -v[8:9]
	s_and_saveexec_b64 s[4:5], vcc
	s_xor_b64 s[4:5], exec, s[4:5]
	s_cbranch_execz .LBB0_14
; %bb.13:
	v_mov_b32_e32 v93, 0
	v_lshlrev_b64 v[0:1], 4, v[92:93]
	v_mov_b32_e32 v2, s7
	v_add_co_u32_e32 v0, vcc, s6, v0
	v_addc_co_u32_e32 v1, vcc, v2, v1, vcc
	global_load_dwordx4 v[2:5], v[0:1], off
	ds_read_b64 v[0:1], v10 offset:14152
	ds_read_b64 v[11:12], v183 offset:8
	v_add_f64 v[13:14], v[6:7], v[8:9]
	v_add_f64 v[8:9], v[6:7], -v[8:9]
	s_waitcnt lgkmcnt(0)
	v_add_f64 v[15:16], v[0:1], v[11:12]
	v_add_f64 v[0:1], v[11:12], -v[0:1]
	s_waitcnt vmcnt(0)
	v_fma_f64 v[6:7], -v[8:9], v[4:5], v[13:14]
	v_fma_f64 v[11:12], v[15:16], v[4:5], -v[0:1]
	v_fma_f64 v[13:14], v[8:9], v[4:5], v[13:14]
	v_fma_f64 v[17:18], v[15:16], v[4:5], v[0:1]
	v_fma_f64 v[4:5], v[15:16], v[2:3], v[6:7]
	v_fma_f64 v[6:7], v[8:9], v[2:3], v[11:12]
	v_fma_f64 v[0:1], -v[15:16], v[2:3], v[13:14]
	v_fma_f64 v[2:3], v[8:9], v[2:3], v[17:18]
	ds_write_b128 v10, v[4:7] offset:14144
	v_mov_b32_e32 v4, v92
	v_mov_b32_e32 v5, v93
.LBB0_14:
	s_andn2_saveexec_b64 s[4:5], s[4:5]
	s_cbranch_execz .LBB0_16
; %bb.15:
	ds_read_b128 v[4:7], v182 offset:7072
	s_waitcnt lgkmcnt(0)
	v_add_f64 v[11:12], v[4:5], v[4:5]
	v_mul_f64 v[13:14], v[6:7], -2.0
	v_mov_b32_e32 v4, 0
	v_mov_b32_e32 v5, 0
	ds_write_b128 v182, v[11:14] offset:7072
.LBB0_16:
	s_or_b64 exec, exec, s[4:5]
	v_lshlrev_b64 v[4:5], 4, v[4:5]
	v_mov_b32_e32 v6, s7
	v_add_co_u32_e32 v23, vcc, s6, v4
	v_addc_co_u32_e32 v24, vcc, v6, v5, vcc
	global_load_dwordx4 v[4:7], v[23:24], off offset:1088
	global_load_dwordx4 v[11:14], v[23:24], off offset:2176
	ds_write_b128 v183, v[0:3]
	ds_read_b128 v[0:3], v183 offset:1088
	ds_read_b128 v[15:18], v10 offset:13056
	global_load_dwordx4 v[19:22], v[23:24], off offset:3264
	s_movk_i32 s4, 0x1000
	s_waitcnt lgkmcnt(0)
	v_add_f64 v[8:9], v[0:1], v[15:16]
	v_add_f64 v[25:26], v[17:18], v[2:3]
	v_add_f64 v[15:16], v[0:1], -v[15:16]
	v_add_f64 v[0:1], v[2:3], -v[17:18]
	s_waitcnt vmcnt(2)
	v_fma_f64 v[2:3], v[15:16], v[6:7], v[8:9]
	v_fma_f64 v[17:18], v[25:26], v[6:7], v[0:1]
	v_fma_f64 v[8:9], -v[15:16], v[6:7], v[8:9]
	v_fma_f64 v[27:28], v[25:26], v[6:7], -v[0:1]
	v_fma_f64 v[0:1], -v[25:26], v[4:5], v[2:3]
	v_fma_f64 v[2:3], v[15:16], v[4:5], v[17:18]
	v_fma_f64 v[6:7], v[25:26], v[4:5], v[8:9]
	;; [unrolled: 1-line block ×3, first 2 shown]
	ds_write_b128 v183, v[0:3] offset:1088
	ds_write_b128 v10, v[6:9] offset:13056
	v_add_co_u32_e32 v0, vcc, s4, v23
	v_addc_co_u32_e32 v1, vcc, 0, v24, vcc
	ds_read_b128 v[2:5], v183 offset:2176
	ds_read_b128 v[6:9], v10 offset:11968
	global_load_dwordx4 v[15:18], v[0:1], off offset:256
	v_cmp_gt_u32_e32 vcc, 34, v92
	s_waitcnt lgkmcnt(0)
	v_add_f64 v[23:24], v[2:3], v[6:7]
	v_add_f64 v[25:26], v[8:9], v[4:5]
	v_add_f64 v[27:28], v[2:3], -v[6:7]
	v_add_f64 v[2:3], v[4:5], -v[8:9]
	s_waitcnt vmcnt(2)
	v_fma_f64 v[4:5], v[27:28], v[13:14], v[23:24]
	v_fma_f64 v[6:7], v[25:26], v[13:14], v[2:3]
	v_fma_f64 v[8:9], -v[27:28], v[13:14], v[23:24]
	v_fma_f64 v[13:14], v[25:26], v[13:14], -v[2:3]
	v_fma_f64 v[2:3], -v[25:26], v[11:12], v[4:5]
	v_fma_f64 v[4:5], v[27:28], v[11:12], v[6:7]
	v_fma_f64 v[6:7], v[25:26], v[11:12], v[8:9]
	;; [unrolled: 1-line block ×3, first 2 shown]
	ds_write_b128 v183, v[2:5] offset:2176
	ds_write_b128 v10, v[6:9] offset:11968
	ds_read_b128 v[2:5], v183 offset:3264
	ds_read_b128 v[6:9], v10 offset:10880
	global_load_dwordx4 v[11:14], v[0:1], off offset:1344
	s_waitcnt lgkmcnt(0)
	v_add_f64 v[23:24], v[2:3], v[6:7]
	v_add_f64 v[25:26], v[8:9], v[4:5]
	v_add_f64 v[27:28], v[2:3], -v[6:7]
	v_add_f64 v[2:3], v[4:5], -v[8:9]
	s_waitcnt vmcnt(2)
	v_fma_f64 v[4:5], v[27:28], v[21:22], v[23:24]
	v_fma_f64 v[6:7], v[25:26], v[21:22], v[2:3]
	v_fma_f64 v[8:9], -v[27:28], v[21:22], v[23:24]
	v_fma_f64 v[21:22], v[25:26], v[21:22], -v[2:3]
	v_fma_f64 v[2:3], -v[25:26], v[19:20], v[4:5]
	v_fma_f64 v[4:5], v[27:28], v[19:20], v[6:7]
	v_fma_f64 v[6:7], v[25:26], v[19:20], v[8:9]
	;; [unrolled: 1-line block ×3, first 2 shown]
	ds_write_b128 v183, v[2:5] offset:3264
	ds_write_b128 v10, v[6:9] offset:10880
	ds_read_b128 v[2:5], v183 offset:4352
	ds_read_b128 v[6:9], v10 offset:9792
	s_waitcnt lgkmcnt(0)
	v_add_f64 v[19:20], v[2:3], v[6:7]
	v_add_f64 v[21:22], v[8:9], v[4:5]
	v_add_f64 v[23:24], v[2:3], -v[6:7]
	v_add_f64 v[2:3], v[4:5], -v[8:9]
	s_waitcnt vmcnt(1)
	v_fma_f64 v[4:5], v[23:24], v[17:18], v[19:20]
	v_fma_f64 v[6:7], v[21:22], v[17:18], v[2:3]
	v_fma_f64 v[8:9], -v[23:24], v[17:18], v[19:20]
	v_fma_f64 v[17:18], v[21:22], v[17:18], -v[2:3]
	v_fma_f64 v[2:3], -v[21:22], v[15:16], v[4:5]
	v_fma_f64 v[4:5], v[23:24], v[15:16], v[6:7]
	v_fma_f64 v[6:7], v[21:22], v[15:16], v[8:9]
	;; [unrolled: 1-line block ×3, first 2 shown]
	ds_write_b128 v183, v[2:5] offset:4352
	ds_write_b128 v10, v[6:9] offset:9792
	ds_read_b128 v[2:5], v183 offset:5440
	ds_read_b128 v[6:9], v10 offset:8704
	s_waitcnt lgkmcnt(0)
	v_add_f64 v[15:16], v[2:3], v[6:7]
	v_add_f64 v[17:18], v[8:9], v[4:5]
	v_add_f64 v[19:20], v[2:3], -v[6:7]
	v_add_f64 v[2:3], v[4:5], -v[8:9]
	s_waitcnt vmcnt(0)
	v_fma_f64 v[4:5], v[19:20], v[13:14], v[15:16]
	v_fma_f64 v[6:7], v[17:18], v[13:14], v[2:3]
	v_fma_f64 v[8:9], -v[19:20], v[13:14], v[15:16]
	v_fma_f64 v[13:14], v[17:18], v[13:14], -v[2:3]
	v_fma_f64 v[2:3], -v[17:18], v[11:12], v[4:5]
	v_fma_f64 v[4:5], v[19:20], v[11:12], v[6:7]
	v_fma_f64 v[6:7], v[17:18], v[11:12], v[8:9]
	;; [unrolled: 1-line block ×3, first 2 shown]
	ds_write_b128 v183, v[2:5] offset:5440
	ds_write_b128 v10, v[6:9] offset:8704
	s_and_saveexec_b64 s[4:5], vcc
	s_cbranch_execz .LBB0_18
; %bb.17:
	global_load_dwordx4 v[0:3], v[0:1], off offset:2432
	ds_read_b128 v[4:7], v183 offset:6528
	ds_read_b128 v[11:14], v10 offset:7616
	s_waitcnt lgkmcnt(0)
	v_add_f64 v[8:9], v[4:5], v[11:12]
	v_add_f64 v[15:16], v[13:14], v[6:7]
	v_add_f64 v[11:12], v[4:5], -v[11:12]
	v_add_f64 v[4:5], v[6:7], -v[13:14]
	s_waitcnt vmcnt(0)
	v_fma_f64 v[6:7], v[11:12], v[2:3], v[8:9]
	v_fma_f64 v[13:14], v[15:16], v[2:3], v[4:5]
	v_fma_f64 v[8:9], -v[11:12], v[2:3], v[8:9]
	v_fma_f64 v[17:18], v[15:16], v[2:3], -v[4:5]
	v_fma_f64 v[2:3], -v[15:16], v[0:1], v[6:7]
	v_fma_f64 v[4:5], v[11:12], v[0:1], v[13:14]
	v_fma_f64 v[6:7], v[15:16], v[0:1], v[8:9]
	;; [unrolled: 1-line block ×3, first 2 shown]
	ds_write_b128 v183, v[2:5] offset:6528
	ds_write_b128 v10, v[6:9] offset:7616
.LBB0_18:
	s_or_b64 exec, exec, s[4:5]
	s_waitcnt lgkmcnt(0)
	s_barrier
	s_barrier
	v_add3_u32 v93, 0, v68, v64
	ds_read_b128 v[0:3], v183
	ds_read_b128 v[4:7], v93 offset:1088
	ds_read_b128 v[8:11], v93 offset:2176
	;; [unrolled: 1-line block ×6, first 2 shown]
	s_waitcnt lgkmcnt(5)
	v_add_f64 v[16:17], v[0:1], v[4:5]
	v_add_f64 v[18:19], v[2:3], v[6:7]
	ds_read_b128 v[24:27], v93 offset:7616
	ds_read_b128 v[40:43], v93 offset:8704
	;; [unrolled: 1-line block ×6, first 2 shown]
	s_mov_b32 s26, 0x66966769
	s_mov_b32 s27, 0xbfefc445
	;; [unrolled: 1-line block ×4, first 2 shown]
	s_waitcnt lgkmcnt(10)
	v_add_f64 v[16:17], v[16:17], v[8:9]
	v_add_f64 v[18:19], v[18:19], v[10:11]
	s_waitcnt lgkmcnt(0)
	v_add_f64 v[71:72], v[6:7], -v[62:63]
	s_mov_b32 s12, 0x2ef20147
	s_mov_b32 s18, 0x24c2f84
	;; [unrolled: 1-line block ×5, first 2 shown]
	v_add_f64 v[16:17], v[16:17], v[12:13]
	v_add_f64 v[18:19], v[18:19], v[14:15]
	s_mov_b32 s23, 0xbfea55e2
	s_mov_b32 s5, 0x3fbedb7d
	;; [unrolled: 1-line block ×5, first 2 shown]
	v_add_f64 v[6:7], v[6:7], v[62:63]
	v_add_f64 v[16:17], v[16:17], v[36:37]
	;; [unrolled: 1-line block ×3, first 2 shown]
	s_mov_b32 s14, 0xe00740e9
	s_mov_b32 s10, 0x1ea71119
	s_mov_b32 s6, 0xb2365da1
	s_mov_b32 s20, 0xd0032e0c
	s_mov_b32 s24, 0x93053d00
	s_mov_b32 s15, 0x3fec55a7
	v_add_f64 v[16:17], v[16:17], v[30:31]
	v_add_f64 v[18:19], v[18:19], v[32:33]
	s_mov_b32 s11, 0x3fe22d96
	s_mov_b32 s7, 0xbfd6b1d8
	;; [unrolled: 1-line block ×6, first 2 shown]
	v_add_f64 v[28:29], v[16:17], v[20:21]
	v_add_f64 v[34:35], v[18:19], v[22:23]
	;; [unrolled: 1-line block ×4, first 2 shown]
	v_add_f64 v[20:21], v[20:21], -v[24:25]
	s_mov_b32 s31, 0x3fefc445
	s_mov_b32 s30, s26
	;; [unrolled: 1-line block ×3, first 2 shown]
	v_add_f64 v[44:45], v[28:29], v[24:25]
	v_add_f64 v[50:51], v[34:35], v[26:27]
	v_add_f64 v[26:27], v[22:23], -v[26:27]
	v_add_f64 v[22:23], v[30:31], v[40:41]
	v_add_f64 v[24:25], v[32:33], v[42:43]
	v_add_f64 v[30:31], v[30:31], -v[40:41]
	v_add_f64 v[34:35], v[32:33], -v[42:43]
	v_add_f64 v[28:29], v[36:37], v[46:47]
	v_add_f64 v[65:66], v[44:45], v[40:41]
	;; [unrolled: 1-line block ×4, first 2 shown]
	v_add_f64 v[40:41], v[36:37], -v[46:47]
	v_add_f64 v[42:43], v[38:39], -v[48:49]
	v_add_f64 v[36:37], v[12:13], v[52:53]
	v_add_f64 v[38:39], v[14:15], v[54:55]
	v_add_f64 v[44:45], v[12:13], -v[52:53]
	v_add_f64 v[65:66], v[65:66], v[46:47]
	v_add_f64 v[69:70], v[50:51], v[48:49]
	;; [unrolled: 3-line block ×3, first 2 shown]
	v_add_f64 v[48:49], v[8:9], -v[56:57]
	v_add_f64 v[50:51], v[10:11], -v[58:59]
	v_mul_f64 v[114:115], v[44:45], s[26:27]
	v_add_f64 v[8:9], v[65:66], v[52:53]
	v_add_f64 v[10:11], v[69:70], v[54:55]
	;; [unrolled: 1-line block ×3, first 2 shown]
	v_mul_f64 v[69:70], v[71:72], s[26:27]
	v_mul_f64 v[54:55], v[71:72], s[16:17]
	;; [unrolled: 1-line block ×3, first 2 shown]
	v_add_f64 v[4:5], v[4:5], -v[60:61]
	v_mul_f64 v[106:107], v[48:49], s[22:23]
	v_add_f64 v[8:9], v[8:9], v[56:57]
	v_add_f64 v[10:11], v[10:11], v[58:59]
	v_mul_f64 v[56:57], v[71:72], s[12:13]
	v_fma_f64 v[75:76], v[52:53], s[4:5], -v[69:70]
	v_fma_f64 v[58:59], v[52:53], s[14:15], -v[54:55]
	v_fma_f64 v[54:55], v[52:53], s[14:15], v[54:55]
	v_fma_f64 v[73:74], v[52:53], s[10:11], -v[65:66]
	v_fma_f64 v[65:66], v[52:53], s[10:11], v[65:66]
	v_add_f64 v[8:9], v[8:9], v[60:61]
	v_add_f64 v[10:11], v[10:11], v[62:63]
	v_fma_f64 v[60:61], v[52:53], s[4:5], v[69:70]
	v_mul_f64 v[62:63], v[71:72], s[18:19]
	v_mul_f64 v[69:70], v[71:72], s[28:29]
	v_fma_f64 v[71:72], v[52:53], s[6:7], -v[56:57]
	v_fma_f64 v[56:57], v[52:53], s[6:7], v[56:57]
	v_mul_f64 v[79:80], v[4:5], s[16:17]
	v_mul_f64 v[83:84], v[4:5], s[22:23]
	;; [unrolled: 1-line block ×4, first 2 shown]
	v_fma_f64 v[77:78], v[52:53], s[20:21], -v[62:63]
	v_fma_f64 v[62:63], v[52:53], s[20:21], v[62:63]
	v_fma_f64 v[81:82], v[52:53], s[24:25], -v[69:70]
	v_fma_f64 v[52:53], v[52:53], s[24:25], v[69:70]
	v_mul_f64 v[69:70], v[4:5], s[26:27]
	v_fma_f64 v[85:86], v[6:7], s[14:15], v[79:80]
	v_mul_f64 v[4:5], v[4:5], s[28:29]
	v_fma_f64 v[96:97], v[6:7], s[10:11], v[83:84]
	v_fma_f64 v[79:80], v[6:7], s[14:15], -v[79:80]
	v_fma_f64 v[83:84], v[6:7], s[10:11], -v[83:84]
	v_fma_f64 v[100:101], v[6:7], s[6:7], v[87:88]
	v_fma_f64 v[87:88], v[6:7], s[6:7], -v[87:88]
	v_fma_f64 v[98:99], v[6:7], s[4:5], v[69:70]
	;; [unrolled: 2-line block ×4, first 2 shown]
	v_fma_f64 v[4:5], v[6:7], s[24:25], -v[4:5]
	v_add_f64 v[6:7], v[0:1], v[58:59]
	v_add_f64 v[58:59], v[2:3], v[85:86]
	;; [unrolled: 1-line block ×4, first 2 shown]
	v_mul_f64 v[98:99], v[50:51], s[22:23]
	v_add_f64 v[108:109], v[0:1], v[56:57]
	v_fma_f64 v[110:111], v[14:15], s[10:11], v[106:107]
	v_mul_f64 v[112:113], v[46:47], s[26:27]
	v_add_f64 v[116:117], v[0:1], v[62:63]
	v_fma_f64 v[62:63], v[38:39], s[4:5], v[114:115]
	v_mul_f64 v[118:119], v[40:41], s[12:13]
	v_add_f64 v[54:55], v[0:1], v[54:55]
	v_fma_f64 v[56:57], v[12:13], s[10:11], -v[98:99]
	v_add_f64 v[79:80], v[2:3], v[79:80]
	v_fma_f64 v[98:99], v[12:13], s[10:11], v[98:99]
	v_fma_f64 v[106:107], v[14:15], s[10:11], -v[106:107]
	v_mul_f64 v[120:121], v[34:35], s[18:19]
	v_mul_f64 v[122:123], v[30:31], s[18:19]
	v_add_f64 v[73:74], v[0:1], v[73:74]
	v_add_f64 v[65:66], v[0:1], v[65:66]
	;; [unrolled: 1-line block ×4, first 2 shown]
	v_fma_f64 v[58:59], v[36:37], s[4:5], -v[112:113]
	v_mul_f64 v[110:111], v[42:43], s[12:13]
	v_add_f64 v[54:55], v[98:99], v[54:55]
	v_add_f64 v[79:80], v[106:107], v[79:80]
	v_fma_f64 v[98:99], v[36:37], s[4:5], v[112:113]
	v_fma_f64 v[106:107], v[38:39], s[4:5], -v[114:115]
	v_add_f64 v[83:84], v[2:3], v[83:84]
	v_add_f64 v[56:57], v[62:63], v[56:57]
	;; [unrolled: 1-line block ×3, first 2 shown]
	v_fma_f64 v[58:59], v[28:29], s[6:7], -v[110:111]
	v_fma_f64 v[62:63], v[32:33], s[6:7], v[118:119]
	v_add_f64 v[75:76], v[0:1], v[75:76]
	v_add_f64 v[60:61], v[0:1], v[60:61]
	;; [unrolled: 1-line block ×8, first 2 shown]
	v_fma_f64 v[58:59], v[22:23], s[20:21], -v[120:121]
	v_fma_f64 v[62:63], v[24:25], s[20:21], v[122:123]
	v_add_f64 v[77:78], v[0:1], v[77:78]
	v_add_f64 v[102:103], v[2:3], v[102:103]
	;; [unrolled: 1-line block ×9, first 2 shown]
	v_fma_f64 v[4:5], v[28:29], s[6:7], v[110:111]
	v_fma_f64 v[52:53], v[32:33], s[6:7], -v[118:119]
	v_add_f64 v[6:7], v[58:59], v[6:7]
	v_add_f64 v[54:55], v[62:63], v[56:57]
	v_mul_f64 v[58:59], v[20:21], s[28:29]
	v_mul_f64 v[62:63], v[50:51], s[12:13]
	;; [unrolled: 1-line block ×4, first 2 shown]
	v_add_f64 v[0:1], v[4:5], v[0:1]
	v_add_f64 v[2:3], v[52:53], v[2:3]
	v_fma_f64 v[4:5], v[22:23], s[20:21], v[120:121]
	v_fma_f64 v[52:53], v[24:25], s[20:21], -v[122:123]
	v_fma_f64 v[106:107], v[16:17], s[24:25], v[58:59]
	v_fma_f64 v[110:111], v[12:13], s[6:7], -v[62:63]
	v_fma_f64 v[118:119], v[14:15], s[6:7], v[79:80]
	v_mul_f64 v[120:121], v[46:47], s[28:29]
	v_mul_f64 v[122:123], v[44:45], s[28:29]
	v_fma_f64 v[98:99], v[18:19], s[24:25], -v[56:57]
	v_add_f64 v[4:5], v[4:5], v[0:1]
	v_add_f64 v[52:53], v[52:53], v[2:3]
	v_fma_f64 v[56:57], v[18:19], s[24:25], v[56:57]
	v_fma_f64 v[58:59], v[16:17], s[24:25], -v[58:59]
	v_add_f64 v[73:74], v[110:111], v[73:74]
	v_add_f64 v[85:86], v[118:119], v[85:86]
	v_fma_f64 v[110:111], v[36:37], s[24:25], -v[120:121]
	v_fma_f64 v[118:119], v[38:39], s[24:25], v[122:123]
	v_mul_f64 v[124:125], v[42:43], s[34:35]
	v_add_f64 v[2:3], v[106:107], v[54:55]
	v_mul_f64 v[54:55], v[40:41], s[34:35]
	v_add_f64 v[0:1], v[98:99], v[6:7]
	v_add_f64 v[4:5], v[56:57], v[4:5]
	;; [unrolled: 1-line block ×5, first 2 shown]
	v_fma_f64 v[58:59], v[28:29], s[20:21], -v[124:125]
	v_fma_f64 v[62:63], v[12:13], s[6:7], v[62:63]
	v_fma_f64 v[73:74], v[14:15], s[6:7], -v[79:80]
	v_fma_f64 v[79:80], v[32:33], s[20:21], v[54:55]
	v_mul_f64 v[85:86], v[34:35], s[30:31]
	v_mul_f64 v[98:99], v[30:31], s[30:31]
	s_mov_b32 s17, 0x3fddbe06
	v_mul_f64 v[106:107], v[26:27], s[16:17]
	v_add_f64 v[52:53], v[58:59], v[52:53]
	v_add_f64 v[58:59], v[62:63], v[65:66]
	;; [unrolled: 1-line block ×3, first 2 shown]
	v_fma_f64 v[65:66], v[36:37], s[24:25], v[120:121]
	v_fma_f64 v[73:74], v[38:39], s[24:25], -v[122:123]
	v_add_f64 v[56:57], v[79:80], v[56:57]
	v_fma_f64 v[79:80], v[22:23], s[4:5], -v[85:86]
	v_fma_f64 v[83:84], v[24:25], s[4:5], v[98:99]
	v_mul_f64 v[110:111], v[20:21], s[16:17]
	v_fma_f64 v[54:55], v[32:33], s[20:21], -v[54:55]
	s_mov_b32 s36, s12
	v_add_f64 v[58:59], v[65:66], v[58:59]
	v_add_f64 v[62:63], v[73:74], v[62:63]
	v_fma_f64 v[65:66], v[28:29], s[20:21], v[124:125]
	v_add_f64 v[52:53], v[79:80], v[52:53]
	v_mul_f64 v[73:74], v[50:51], s[28:29]
	v_mul_f64 v[79:80], v[48:49], s[28:29]
	v_add_f64 v[56:57], v[83:84], v[56:57]
	v_fma_f64 v[83:84], v[18:19], s[14:15], -v[106:107]
	v_fma_f64 v[118:119], v[16:17], s[14:15], v[110:111]
	v_add_f64 v[62:63], v[54:55], v[62:63]
	v_add_f64 v[58:59], v[65:66], v[58:59]
	v_fma_f64 v[65:66], v[22:23], s[4:5], v[85:86]
	v_fma_f64 v[85:86], v[24:25], s[4:5], -v[98:99]
	v_fma_f64 v[98:99], v[12:13], s[24:25], -v[73:74]
	v_fma_f64 v[120:121], v[14:15], s[24:25], v[79:80]
	v_mul_f64 v[122:123], v[46:47], s[36:37]
	v_mul_f64 v[124:125], v[44:45], s[36:37]
	v_add_f64 v[52:53], v[83:84], v[52:53]
	v_add_f64 v[54:55], v[118:119], v[56:57]
	;; [unrolled: 1-line block ×6, first 2 shown]
	v_fma_f64 v[75:76], v[36:37], s[6:7], -v[122:123]
	v_fma_f64 v[83:84], v[38:39], s[6:7], v[124:125]
	v_mul_f64 v[85:86], v[42:43], s[16:17]
	v_mul_f64 v[96:97], v[40:41], s[16:17]
	v_fma_f64 v[73:74], v[12:13], s[24:25], v[73:74]
	v_fma_f64 v[79:80], v[14:15], s[24:25], -v[79:80]
	v_fma_f64 v[98:99], v[18:19], s[14:15], v[106:107]
	v_fma_f64 v[106:107], v[16:17], s[14:15], -v[110:111]
	v_add_f64 v[62:63], v[75:76], v[62:63]
	v_add_f64 v[65:66], v[83:84], v[65:66]
	v_fma_f64 v[75:76], v[28:29], s[14:15], -v[85:86]
	v_fma_f64 v[83:84], v[32:33], s[14:15], v[96:97]
	v_mul_f64 v[110:111], v[34:35], s[22:23]
	v_mul_f64 v[118:119], v[30:31], s[22:23]
	v_add_f64 v[60:61], v[73:74], v[60:61]
	v_add_f64 v[69:70], v[79:80], v[69:70]
	v_fma_f64 v[73:74], v[36:37], s[6:7], v[122:123]
	v_fma_f64 v[79:80], v[38:39], s[6:7], -v[124:125]
	v_add_f64 v[62:63], v[75:76], v[62:63]
	v_add_f64 v[65:66], v[83:84], v[65:66]
	v_fma_f64 v[75:76], v[22:23], s[10:11], -v[110:111]
	v_fma_f64 v[83:84], v[24:25], s[10:11], v[118:119]
	v_mul_f64 v[120:121], v[46:47], s[16:17]
	v_mul_f64 v[122:123], v[44:45], s[16:17]
	v_add_f64 v[60:61], v[73:74], v[60:61]
	v_add_f64 v[69:70], v[79:80], v[69:70]
	v_fma_f64 v[73:74], v[28:29], s[14:15], v[85:86]
	v_fma_f64 v[79:80], v[32:33], s[14:15], -v[96:97]
	v_mul_f64 v[85:86], v[50:51], s[34:35]
	v_mul_f64 v[96:97], v[48:49], s[34:35]
	v_add_f64 v[62:63], v[75:76], v[62:63]
	v_add_f64 v[65:66], v[83:84], v[65:66]
	v_mul_f64 v[75:76], v[26:27], s[18:19]
	v_mul_f64 v[83:84], v[20:21], s[18:19]
	v_add_f64 v[60:61], v[73:74], v[60:61]
	v_add_f64 v[69:70], v[79:80], v[69:70]
	v_fma_f64 v[73:74], v[22:23], s[10:11], v[110:111]
	v_fma_f64 v[79:80], v[24:25], s[10:11], -v[118:119]
	v_fma_f64 v[110:111], v[12:13], s[20:21], -v[85:86]
	v_fma_f64 v[118:119], v[14:15], s[20:21], v[96:97]
	v_add_f64 v[56:57], v[98:99], v[56:57]
	v_add_f64 v[58:59], v[106:107], v[58:59]
	v_fma_f64 v[98:99], v[18:19], s[20:21], -v[75:76]
	v_fma_f64 v[106:107], v[16:17], s[20:21], v[83:84]
	v_add_f64 v[73:74], v[73:74], v[60:61]
	v_add_f64 v[79:80], v[79:80], v[69:70]
	v_fma_f64 v[69:70], v[18:19], s[20:21], v[75:76]
	v_fma_f64 v[75:76], v[16:17], s[20:21], -v[83:84]
	v_add_f64 v[83:84], v[110:111], v[71:72]
	v_add_f64 v[100:101], v[118:119], v[100:101]
	v_fma_f64 v[110:111], v[36:37], s[14:15], -v[120:121]
	v_fma_f64 v[118:119], v[38:39], s[14:15], v[122:123]
	v_mul_f64 v[124:125], v[42:43], s[26:27]
	v_mul_f64 v[126:127], v[40:41], s[26:27]
	s_mov_b32 s29, 0x3fcea1e5
	v_add_f64 v[60:61], v[98:99], v[62:63]
	v_add_f64 v[62:63], v[106:107], v[65:66]
	;; [unrolled: 1-line block ×6, first 2 shown]
	v_fma_f64 v[75:76], v[28:29], s[4:5], -v[124:125]
	v_fma_f64 v[79:80], v[32:33], s[4:5], v[126:127]
	v_fma_f64 v[83:84], v[12:13], s[20:21], v[85:86]
	v_fma_f64 v[85:86], v[14:15], s[20:21], -v[96:97]
	v_mul_f64 v[96:97], v[34:35], s[28:29]
	v_mul_f64 v[98:99], v[30:31], s[28:29]
	s_mov_b32 s27, 0x3fea55e2
	s_mov_b32 s26, s22
	v_add_f64 v[65:66], v[75:76], v[65:66]
	v_add_f64 v[73:74], v[79:80], v[73:74]
	;; [unrolled: 1-line block ×4, first 2 shown]
	v_fma_f64 v[83:84], v[36:37], s[14:15], v[120:121]
	v_fma_f64 v[85:86], v[38:39], s[14:15], -v[122:123]
	v_fma_f64 v[87:88], v[22:23], s[24:25], -v[96:97]
	v_fma_f64 v[100:101], v[24:25], s[24:25], v[98:99]
	v_mul_f64 v[106:107], v[26:27], s[26:27]
	v_mul_f64 v[110:111], v[48:49], s[30:31]
	;; [unrolled: 1-line block ×4, first 2 shown]
	v_add_f64 v[75:76], v[83:84], v[75:76]
	v_add_f64 v[79:80], v[85:86], v[79:80]
	v_fma_f64 v[83:84], v[28:29], s[4:5], v[124:125]
	v_fma_f64 v[85:86], v[32:33], s[4:5], -v[126:127]
	v_add_f64 v[65:66], v[87:88], v[65:66]
	v_add_f64 v[87:88], v[100:101], v[73:74]
	v_mul_f64 v[100:101], v[50:51], s[30:31]
	v_fma_f64 v[73:74], v[18:19], s[10:11], -v[106:107]
	v_fma_f64 v[120:121], v[14:15], s[4:5], v[110:111]
	v_fma_f64 v[118:119], v[16:17], s[10:11], v[108:109]
	v_add_f64 v[83:84], v[83:84], v[75:76]
	v_add_f64 v[79:80], v[85:86], v[79:80]
	v_fma_f64 v[85:86], v[22:23], s[24:25], v[96:97]
	v_fma_f64 v[96:97], v[24:25], s[24:25], -v[98:99]
	v_fma_f64 v[98:99], v[12:13], s[4:5], -v[100:101]
	v_mul_f64 v[124:125], v[44:45], s[22:23]
	v_add_f64 v[73:74], v[73:74], v[65:66]
	v_fma_f64 v[100:101], v[12:13], s[4:5], v[100:101]
	v_add_f64 v[75:76], v[118:119], v[87:88]
	v_mul_f64 v[50:51], v[50:51], s[16:17]
	v_add_f64 v[65:66], v[85:86], v[83:84]
	v_add_f64 v[79:80], v[96:97], v[79:80]
	;; [unrolled: 1-line block ×4, first 2 shown]
	v_fma_f64 v[85:86], v[36:37], s[10:11], -v[122:123]
	v_mul_f64 v[96:97], v[42:43], s[28:29]
	v_fma_f64 v[102:103], v[18:19], s[10:11], v[106:107]
	v_fma_f64 v[106:107], v[16:17], s[10:11], -v[108:109]
	v_fma_f64 v[108:109], v[14:15], s[4:5], -v[110:111]
	v_fma_f64 v[87:88], v[38:39], s[10:11], v[124:125]
	v_mul_f64 v[98:99], v[40:41], s[28:29]
	v_add_f64 v[100:101], v[100:101], v[116:117]
	v_add_f64 v[77:78], v[85:86], v[77:78]
	v_fma_f64 v[85:86], v[28:29], s[24:25], -v[96:97]
	v_mul_f64 v[110:111], v[34:35], s[16:17]
	v_fma_f64 v[96:97], v[28:29], s[24:25], v[96:97]
	v_add_f64 v[89:90], v[108:109], v[89:90]
	v_fma_f64 v[108:109], v[36:37], s[10:11], v[122:123]
	v_add_f64 v[83:84], v[87:88], v[83:84]
	v_fma_f64 v[87:88], v[32:33], s[24:25], v[98:99]
	v_mul_f64 v[48:49], v[48:49], s[16:17]
	v_add_f64 v[85:86], v[85:86], v[77:78]
	v_add_f64 v[77:78], v[102:103], v[65:66]
	v_mul_f64 v[46:47], v[46:47], s[18:19]
	v_mul_f64 v[44:45], v[44:45], s[18:19]
	v_add_f64 v[65:66], v[108:109], v[100:101]
	v_fma_f64 v[108:109], v[12:13], s[14:15], -v[50:51]
	v_add_f64 v[83:84], v[87:88], v[83:84]
	v_fma_f64 v[87:88], v[22:23], s[14:15], -v[110:111]
	v_fma_f64 v[12:13], v[12:13], s[14:15], v[50:51]
	v_mul_f64 v[42:43], v[42:43], s[26:27]
	v_mul_f64 v[40:41], v[40:41], s[26:27]
	v_fma_f64 v[116:117], v[38:39], s[10:11], -v[124:125]
	v_add_f64 v[65:66], v[96:97], v[65:66]
	v_fma_f64 v[96:97], v[22:23], s[14:15], v[110:111]
	v_fma_f64 v[110:111], v[14:15], s[14:15], v[48:49]
	v_fma_f64 v[14:15], v[14:15], s[14:15], -v[48:49]
	v_add_f64 v[48:49], v[108:109], v[81:82]
	v_fma_f64 v[81:82], v[36:37], s[20:21], -v[46:47]
	v_add_f64 v[12:13], v[12:13], v[112:113]
	v_fma_f64 v[36:37], v[36:37], s[20:21], v[46:47]
	v_mul_f64 v[118:119], v[30:31], s[16:17]
	v_add_f64 v[65:66], v[96:97], v[65:66]
	v_add_f64 v[50:51], v[110:111], v[104:105]
	v_fma_f64 v[96:97], v[38:39], s[20:21], v[44:45]
	v_add_f64 v[14:15], v[14:15], v[114:115]
	v_fma_f64 v[38:39], v[38:39], s[20:21], -v[44:45]
	v_add_f64 v[44:45], v[81:82], v[48:49]
	v_fma_f64 v[48:49], v[28:29], s[10:11], -v[42:43]
	v_mul_f64 v[34:35], v[34:35], s[12:13]
	v_mul_f64 v[30:31], v[30:31], s[12:13]
	v_add_f64 v[89:90], v[116:117], v[89:90]
	v_add_f64 v[46:47], v[96:97], v[50:51]
	v_fma_f64 v[50:51], v[32:33], s[10:11], v[40:41]
	v_fma_f64 v[98:99], v[32:33], s[24:25], -v[98:99]
	v_add_f64 v[12:13], v[36:37], v[12:13]
	v_add_f64 v[14:15], v[38:39], v[14:15]
	v_fma_f64 v[28:29], v[28:29], s[10:11], v[42:43]
	v_fma_f64 v[32:33], v[32:33], s[10:11], -v[40:41]
	v_fma_f64 v[120:121], v[24:25], s[14:15], v[118:119]
	v_add_f64 v[85:86], v[87:88], v[85:86]
	v_mul_f64 v[87:88], v[26:27], s[12:13]
	v_mul_f64 v[100:101], v[20:21], s[12:13]
	v_add_f64 v[36:37], v[48:49], v[44:45]
	v_add_f64 v[38:39], v[50:51], v[46:47]
	v_fma_f64 v[40:41], v[22:23], s[6:7], -v[34:35]
	v_fma_f64 v[42:43], v[24:25], s[6:7], v[30:31]
	v_mul_f64 v[26:27], v[26:27], s[30:31]
	v_mul_f64 v[20:21], v[20:21], s[30:31]
	v_add_f64 v[89:90], v[98:99], v[89:90]
	v_fma_f64 v[98:99], v[24:25], s[14:15], -v[118:119]
	v_add_f64 v[12:13], v[28:29], v[12:13]
	v_add_f64 v[14:15], v[32:33], v[14:15]
	v_fma_f64 v[22:23], v[22:23], s[6:7], v[34:35]
	v_fma_f64 v[24:25], v[24:25], s[6:7], -v[30:31]
	v_add_f64 v[79:80], v[106:107], v[79:80]
	v_add_f64 v[83:84], v[120:121], v[83:84]
	v_fma_f64 v[102:103], v[18:19], s[6:7], -v[87:88]
	v_fma_f64 v[106:107], v[16:17], s[6:7], v[100:101]
	v_fma_f64 v[28:29], v[18:19], s[6:7], v[87:88]
	v_add_f64 v[32:33], v[40:41], v[36:37]
	v_add_f64 v[34:35], v[42:43], v[38:39]
	v_fma_f64 v[36:37], v[18:19], s[4:5], -v[26:27]
	v_fma_f64 v[38:39], v[16:17], s[4:5], v[20:21]
	v_add_f64 v[89:90], v[98:99], v[89:90]
	v_fma_f64 v[30:31], v[16:17], s[6:7], -v[100:101]
	v_add_f64 v[40:41], v[22:23], v[12:13]
	v_add_f64 v[42:43], v[24:25], v[14:15]
	v_fma_f64 v[24:25], v[18:19], s[4:5], v[26:27]
	v_fma_f64 v[26:27], v[16:17], s[4:5], -v[20:21]
	v_add_f64 v[12:13], v[102:103], v[85:86]
	v_add_f64 v[14:15], v[106:107], v[83:84]
	v_add_f64 v[16:17], v[28:29], v[65:66]
	v_add_f64 v[20:21], v[36:37], v[32:33]
	v_add_f64 v[22:23], v[38:39], v[34:35]
	v_mul_u32_u24_e32 v28, 0xd0, v92
	v_add_f64 v[18:19], v[30:31], v[89:90]
	v_add_f64 v[24:25], v[24:25], v[40:41]
	;; [unrolled: 1-line block ×3, first 2 shown]
	v_add3_u32 v28, 0, v28, v64
	s_barrier
	ds_write_b128 v28, v[8:11]
	ds_write_b128 v28, v[0:3] offset:16
	ds_write_b128 v28, v[52:55] offset:32
	;; [unrolled: 1-line block ×12, first 2 shown]
	s_waitcnt lgkmcnt(0)
	s_barrier
	ds_read_b128 v[0:3], v183
	ds_read_b128 v[8:11], v93 offset:1088
	ds_read_b128 v[16:19], v93 offset:7072
	;; [unrolled: 1-line block ×11, first 2 shown]
	v_cmp_gt_u32_e32 vcc, 17, v92
                                        ; implicit-def: $vgpr54_vgpr55
                                        ; implicit-def: $vgpr58_vgpr59
                                        ; implicit-def: $vgpr62_vgpr63
	s_and_saveexec_b64 s[4:5], vcc
	s_cbranch_execz .LBB0_20
; %bb.19:
	ds_read_b128 v[4:7], v93 offset:3264
	ds_read_b128 v[52:55], v93 offset:6800
	;; [unrolled: 1-line block ×4, first 2 shown]
.LBB0_20:
	s_or_b64 exec, exec, s[4:5]
	s_movk_i32 s6, 0x4f
	v_mul_lo_u16_sdwa v66, v92, s6 dst_sel:DWORD dst_unused:UNUSED_PAD src0_sel:BYTE_0 src1_sel:DWORD
	v_lshrrev_b16_e32 v66, 10, v66
	v_mul_lo_u16_e32 v67, 13, v66
	v_sub_u16_e32 v67, v92, v67
	v_mov_b32_e32 v71, 3
	v_mul_u32_u24_sdwa v69, v67, v71 dst_sel:DWORD dst_unused:UNUSED_PAD src0_sel:BYTE_0 src1_sel:DWORD
	v_add_u16_e32 v70, 0x44, v92
	v_lshlrev_b32_e32 v100, 4, v69
	v_mul_lo_u16_sdwa v69, v70, s6 dst_sel:DWORD dst_unused:UNUSED_PAD src0_sel:BYTE_0 src1_sel:DWORD
	v_lshrrev_b16_e32 v69, 10, v69
	v_mul_lo_u16_e32 v80, 13, v69
	v_sub_u16_e32 v70, v70, v80
	v_mul_u32_u24_sdwa v80, v70, v71 dst_sel:DWORD dst_unused:UNUSED_PAD src0_sel:BYTE_0 src1_sel:DWORD
	v_lshlrev_b32_e32 v101, 4, v80
	global_load_dwordx4 v[72:75], v100, s[8:9] offset:16
	global_load_dwordx4 v[76:79], v100, s[8:9]
	global_load_dwordx4 v[80:83], v101, s[8:9] offset:32
	global_load_dwordx4 v[84:87], v101, s[8:9] offset:16
	global_load_dwordx4 v[88:91], v100, s[8:9] offset:32
	global_load_dwordx4 v[96:99], v101, s[8:9]
	v_add_u16_e32 v100, 0x88, v92
	v_mul_lo_u16_sdwa v101, v100, s6 dst_sel:DWORD dst_unused:UNUSED_PAD src0_sel:BYTE_0 src1_sel:DWORD
	v_lshrrev_b16_e32 v148, 10, v101
	v_mul_lo_u16_e32 v101, 13, v148
	v_sub_u16_e32 v149, v100, v101
	v_add_u32_e32 v65, 0xcc, v92
	v_mul_u32_u24_sdwa v71, v149, v71 dst_sel:DWORD dst_unused:UNUSED_PAD src0_sel:BYTE_0 src1_sel:DWORD
	s_movk_i32 s4, 0x4ec5
	v_lshlrev_b32_e32 v108, 4, v71
	v_mul_u32_u24_sdwa v71, v65, s4 dst_sel:DWORD dst_unused:UNUSED_PAD src0_sel:WORD_0 src1_sel:DWORD
	v_lshrrev_b32_e32 v71, 18, v71
	v_mul_lo_u16_e32 v71, 13, v71
	v_sub_u16_e32 v71, v65, v71
	v_mul_u32_u24_e32 v112, 3, v71
	v_lshlrev_b32_e32 v120, 4, v112
	global_load_dwordx4 v[100:103], v108, s[8:9] offset:16
	global_load_dwordx4 v[104:107], v108, s[8:9]
	s_movk_i32 s7, 0x340
	global_load_dwordx4 v[108:111], v108, s[8:9] offset:32
	s_nop 0
	global_load_dwordx4 v[112:115], v120, s[8:9]
	global_load_dwordx4 v[116:119], v120, s[8:9] offset:16
	s_nop 0
	global_load_dwordx4 v[120:123], v120, s[8:9] offset:32
	v_mad_u32_u24 v66, v66, s7, 0
	s_waitcnt vmcnt(0) lgkmcnt(0)
	s_barrier
	v_mul_f64 v[134:135], v[42:43], v[82:83]
	v_mul_f64 v[126:127], v[18:19], v[74:75]
	;; [unrolled: 1-line block ×12, first 2 shown]
	v_fma_f64 v[44:45], v[44:45], v[76:77], -v[124:125]
	v_fma_f64 v[46:47], v[46:47], v[76:77], v[78:79]
	v_fma_f64 v[16:17], v[16:17], v[72:73], -v[126:127]
	v_fma_f64 v[18:19], v[18:19], v[72:73], v[74:75]
	;; [unrolled: 2-line block ×3, first 2 shown]
	v_mul_f64 v[138:139], v[30:31], v[102:103]
	v_mul_f64 v[136:137], v[22:23], v[106:107]
	;; [unrolled: 1-line block ×12, first 2 shown]
	v_fma_f64 v[36:37], v[36:37], v[96:97], -v[130:131]
	v_fma_f64 v[38:39], v[38:39], v[96:97], v[98:99]
	v_fma_f64 v[12:13], v[12:13], v[84:85], -v[132:133]
	v_fma_f64 v[14:15], v[14:15], v[84:85], v[86:87]
	;; [unrolled: 2-line block ×9, first 2 shown]
	v_add_f64 v[60:61], v[0:1], -v[16:17]
	v_add_f64 v[62:63], v[2:3], -v[18:19]
	;; [unrolled: 1-line block ×16, first 2 shown]
	v_fma_f64 v[0:1], v[0:1], 2.0, -v[60:61]
	v_fma_f64 v[2:3], v[2:3], 2.0, -v[62:63]
	;; [unrolled: 1-line block ×8, first 2 shown]
	v_add_f64 v[20:21], v[60:61], -v[18:19]
	v_add_f64 v[22:23], v[62:63], v[16:17]
	v_fma_f64 v[24:25], v[24:25], 2.0, -v[76:77]
	v_fma_f64 v[26:27], v[26:27], 2.0, -v[78:79]
	;; [unrolled: 1-line block ×8, first 2 shown]
	v_add_f64 v[16:17], v[0:1], -v[28:29]
	v_add_f64 v[18:19], v[2:3], -v[30:31]
	;; [unrolled: 1-line block ×5, first 2 shown]
	v_add_f64 v[34:35], v[50:51], v[12:13]
	v_fma_f64 v[12:13], v[60:61], 2.0, -v[20:21]
	v_fma_f64 v[14:15], v[62:63], 2.0, -v[22:23]
	v_add_f64 v[36:37], v[24:25], -v[36:37]
	v_add_f64 v[38:39], v[26:27], -v[38:39]
	;; [unrolled: 1-line block ×3, first 2 shown]
	v_add_f64 v[46:47], v[78:79], v[80:81]
	v_add_f64 v[52:53], v[72:73], -v[4:5]
	v_add_f64 v[54:55], v[74:75], -v[6:7]
	;; [unrolled: 1-line block ×3, first 2 shown]
	v_add_f64 v[62:63], v[86:87], v[56:57]
	v_fma_f64 v[0:1], v[0:1], 2.0, -v[16:17]
	v_fma_f64 v[2:3], v[2:3], 2.0, -v[18:19]
	;; [unrolled: 1-line block ×14, first 2 shown]
	v_mov_b32_e32 v72, 4
	v_lshlrev_b32_sdwa v67, v72, v67 dst_sel:DWORD dst_unused:UNUSED_PAD src0_sel:DWORD src1_sel:BYTE_0
	v_add3_u32 v66, v66, v67, v64
	ds_write_b128 v66, v[0:3]
	ds_write_b128 v66, v[12:15] offset:208
	ds_write_b128 v66, v[16:19] offset:416
	;; [unrolled: 1-line block ×3, first 2 shown]
	v_mad_u32_u24 v66, v69, s7, 0
	v_lshlrev_b32_sdwa v67, v72, v70 dst_sel:DWORD dst_unused:UNUSED_PAD src0_sel:DWORD src1_sel:BYTE_0
	v_add3_u32 v66, v66, v67, v64
	ds_write_b128 v66, v[28:31]
	ds_write_b128 v66, v[40:43] offset:208
	ds_write_b128 v66, v[8:11] offset:416
	ds_write_b128 v66, v[32:35] offset:624
	v_mad_u32_u24 v66, v148, s7, 0
	v_lshlrev_b32_sdwa v67, v72, v149 dst_sel:DWORD dst_unused:UNUSED_PAD src0_sel:DWORD src1_sel:BYTE_0
	v_add3_u32 v66, v66, v67, v64
	ds_write_b128 v66, v[4:7]
	ds_write_b128 v66, v[24:27] offset:208
	ds_write_b128 v66, v[36:39] offset:416
	ds_write_b128 v66, v[44:47] offset:624
	s_and_saveexec_b64 s[4:5], vcc
	s_cbranch_execz .LBB0_22
; %bb.21:
	v_mul_lo_u16_sdwa v65, v65, s6 dst_sel:DWORD dst_unused:UNUSED_PAD src0_sel:BYTE_0 src1_sel:DWORD
	v_lshrrev_b16_e32 v65, 10, v65
	v_mad_u32_u24 v65, v65, s7, 0
	v_lshlrev_b32_e32 v66, 4, v71
	v_add3_u32 v64, v65, v66, v64
	ds_write_b128 v64, v[48:51]
	ds_write_b128 v64, v[56:59] offset:208
	ds_write_b128 v64, v[52:55] offset:416
	;; [unrolled: 1-line block ×3, first 2 shown]
.LBB0_22:
	s_or_b64 exec, exec, s[4:5]
	v_cmp_gt_u32_e32 vcc, 52, v92
	s_waitcnt lgkmcnt(0)
	s_barrier
	s_waitcnt lgkmcnt(0)
                                        ; implicit-def: $vgpr66_vgpr67
	s_and_saveexec_b64 s[4:5], vcc
	s_cbranch_execz .LBB0_24
; %bb.23:
	ds_read_b128 v[0:3], v183
	ds_read_b128 v[12:15], v93 offset:832
	ds_read_b128 v[16:19], v93 offset:1664
	;; [unrolled: 1-line block ×16, first 2 shown]
.LBB0_24:
	s_or_b64 exec, exec, s[4:5]
	s_waitcnt lgkmcnt(0)
	s_barrier
	s_and_saveexec_b64 s[4:5], vcc
	s_cbranch_execz .LBB0_26
; %bb.25:
	v_add_u32_e32 v69, 0xfffffcc0, v68
	v_cndmask_b32_e32 v68, v69, v68, vcc
	v_mov_b32_e32 v69, 0
	v_lshlrev_b64 v[68:69], 4, v[68:69]
	v_mov_b32_e32 v70, s9
	v_add_co_u32_e32 v124, vcc, s8, v68
	v_addc_co_u32_e32 v125, vcc, v70, v69, vcc
	global_load_dwordx4 v[68:71], v[124:125], off offset:736
	global_load_dwordx4 v[72:75], v[124:125], off offset:752
	;; [unrolled: 1-line block ×16, first 2 shown]
	s_mov_b32 s6, 0x7faef3
	s_mov_b32 s7, 0xbfef7484
	;; [unrolled: 1-line block ×48, first 2 shown]
	s_waitcnt vmcnt(15)
	v_mul_f64 v[124:125], v[4:5], v[70:71]
	v_mul_f64 v[160:161], v[6:7], v[70:71]
	s_waitcnt vmcnt(13)
	v_mul_f64 v[70:71], v[32:33], v[90:91]
	v_mul_f64 v[166:167], v[24:25], v[74:75]
	;; [unrolled: 3-line block ×4, first 2 shown]
	v_mul_f64 v[188:189], v[46:47], v[78:79]
	s_waitcnt vmcnt(6)
	v_mul_f64 v[144:145], v[12:13], v[110:111]
	v_mul_f64 v[110:111], v[14:15], v[110:111]
	s_waitcnt vmcnt(4)
	v_mul_f64 v[152:153], v[64:65], v[118:119]
	;; [unrolled: 3-line block ×3, first 2 shown]
	s_waitcnt vmcnt(2)
	v_mul_f64 v[156:157], v[60:61], v[128:129]
	v_mul_f64 v[78:79], v[40:41], v[98:99]
	;; [unrolled: 1-line block ×3, first 2 shown]
	v_fma_f64 v[170:171], v[14:15], v[108:109], v[144:145]
	v_mul_f64 v[158:159], v[18:19], v[122:123]
	v_fma_f64 v[66:67], v[66:67], v[116:117], v[152:153]
	s_waitcnt vmcnt(1)
	v_mul_f64 v[172:173], v[20:21], v[134:135]
	s_waitcnt vmcnt(0)
	v_mul_f64 v[174:175], v[52:53], v[142:143]
	v_mul_f64 v[176:177], v[62:63], v[128:129]
	v_fma_f64 v[128:129], v[40:41], v[96:97], -v[82:83]
	v_fma_f64 v[168:169], v[12:13], v[108:109], -v[110:111]
	;; [unrolled: 1-line block ×3, first 2 shown]
	v_fma_f64 v[164:165], v[18:19], v[120:121], v[154:155]
	v_fma_f64 v[62:63], v[62:63], v[126:127], v[156:157]
	v_add_f64 v[40:41], v[170:171], v[66:67]
	v_mul_f64 v[178:179], v[26:27], v[74:75]
	v_mul_f64 v[148:149], v[36:37], v[86:87]
	;; [unrolled: 1-line block ×7, first 2 shown]
	v_fma_f64 v[74:75], v[6:7], v[68:69], v[124:125]
	v_fma_f64 v[124:125], v[34:35], v[88:89], v[70:71]
	v_fma_f64 v[162:163], v[16:17], v[120:121], -v[158:159]
	v_fma_f64 v[70:71], v[58:59], v[112:113], v[146:147]
	v_fma_f64 v[152:153], v[22:23], v[132:133], v[172:173]
	;; [unrolled: 1-line block ×3, first 2 shown]
	v_fma_f64 v[54:55], v[60:61], v[126:127], -v[176:177]
	v_add_f64 v[158:159], v[164:165], v[62:63]
	v_add_f64 v[172:173], v[168:169], -v[64:65]
	v_mul_f64 v[6:7], v[40:41], s[6:7]
	v_mul_f64 v[98:99], v[30:31], v[102:103]
	;; [unrolled: 1-line block ×3, first 2 shown]
	v_fma_f64 v[138:139], v[30:31], v[100:101], v[86:87]
	v_fma_f64 v[156:157], v[20:21], v[132:133], -v[134:135]
	v_fma_f64 v[52:53], v[52:53], v[140:141], -v[142:143]
	v_add_f64 v[176:177], v[170:171], -v[66:67]
	v_add_f64 v[154:155], v[152:153], v[58:59]
	v_add_f64 v[118:119], v[162:163], -v[54:55]
	v_mul_f64 v[12:13], v[158:159], s[14:15]
	v_fma_f64 v[14:15], v[172:173], s[8:9], v[6:7]
	v_mul_f64 v[90:91], v[34:35], v[90:91]
	v_mul_f64 v[106:107], v[50:51], v[106:107]
	v_fma_f64 v[130:131], v[42:43], v[96:97], v[78:79]
	v_fma_f64 v[136:137], v[28:29], v[100:101], -v[98:99]
	v_fma_f64 v[56:57], v[56:57], v[112:113], -v[114:115]
	v_fma_f64 v[50:51], v[50:51], v[104:105], v[102:103]
	v_add_f64 v[120:121], v[164:165], -v[62:63]
	v_add_f64 v[174:175], v[168:169], v[64:65]
	v_add_f64 v[102:103], v[156:157], -v[52:53]
	v_add_f64 v[146:147], v[138:139], v[70:71]
	v_mul_f64 v[16:17], v[176:177], s[12:13]
	v_mul_f64 v[18:19], v[154:155], s[10:11]
	v_fma_f64 v[20:21], v[118:119], s[18:19], v[12:13]
	v_add_f64 v[14:15], v[2:3], v[14:15]
	v_fma_f64 v[122:123], v[32:33], v[88:89], -v[90:91]
	v_fma_f64 v[48:49], v[48:49], v[104:105], -v[106:107]
	v_add_f64 v[108:109], v[152:153], -v[58:59]
	v_add_f64 v[100:101], v[162:163], v[54:55]
	v_add_f64 v[82:83], v[136:137], -v[56:57]
	v_add_f64 v[144:145], v[130:131], v[50:51]
	v_mul_f64 v[22:23], v[120:121], s[22:23]
	v_mul_f64 v[28:29], v[146:147], s[26:27]
	v_fma_f64 v[30:31], v[174:175], s[6:7], v[16:17]
	v_fma_f64 v[32:33], v[102:103], s[16:17], v[18:19]
	v_add_f64 v[14:15], v[20:21], v[14:15]
	v_add_f64 v[86:87], v[156:157], v[52:53]
	v_add_f64 v[78:79], v[128:129], -v[48:49]
	v_mul_f64 v[20:21], v[108:109], s[20:21]
	v_mul_f64 v[34:35], v[144:145], s[24:25]
	v_fma_f64 v[42:43], v[100:101], s[14:15], v[22:23]
	v_fma_f64 v[60:61], v[82:83], s[30:31], v[28:29]
	v_add_f64 v[30:31], v[0:1], v[30:31]
	v_add_f64 v[14:15], v[32:33], v[14:15]
	v_fma_f64 v[110:111], v[38:39], v[84:85], v[148:149]
	v_fma_f64 v[148:149], v[10:11], v[80:81], v[180:181]
	;; [unrolled: 1-line block ×3, first 2 shown]
	v_add_f64 v[114:115], v[138:139], -v[70:71]
	v_fma_f64 v[10:11], v[86:87], s[10:11], v[20:21]
	v_fma_f64 v[32:33], v[78:79], s[28:29], v[34:35]
	v_add_f64 v[30:31], v[42:43], v[30:31]
	v_add_f64 v[14:15], v[60:61], v[14:15]
	v_fma_f64 v[116:117], v[36:37], v[84:85], -v[150:151]
	v_fma_f64 v[150:151], v[8:9], v[80:81], -v[184:185]
	v_add_f64 v[132:133], v[148:149], v[96:97]
	v_fma_f64 v[112:113], v[44:45], v[76:77], -v[188:189]
	v_add_f64 v[80:81], v[136:137], v[56:57]
	v_mul_f64 v[8:9], v[114:115], s[40:41]
	v_add_f64 v[104:105], v[130:131], -v[50:51]
	v_add_f64 v[10:11], v[10:11], v[30:31]
	v_add_f64 v[14:15], v[32:33], v[14:15]
	;; [unrolled: 1-line block ×3, first 2 shown]
	v_mul_f64 v[30:31], v[132:133], s[38:39]
	v_add_f64 v[84:85], v[150:151], -v[112:113]
	v_add_f64 v[98:99], v[128:129], v[48:49]
	v_fma_f64 v[32:33], v[80:81], s[26:27], v[8:9]
	v_mul_f64 v[36:37], v[104:105], s[34:35]
	v_add_f64 v[106:107], v[148:149], -v[96:97]
	v_add_f64 v[76:77], v[122:123], -v[116:117]
	v_mul_f64 v[42:43], v[60:61], s[36:37]
	v_add_f64 v[88:89], v[150:151], v[112:113]
	v_fma_f64 v[38:39], v[84:85], s[42:43], v[30:31]
	v_fma_f64 v[142:143], v[26:27], v[72:73], v[166:167]
	v_add_f64 v[10:11], v[32:33], v[10:11]
	v_fma_f64 v[32:33], v[98:99], s[24:25], v[36:37]
	v_mul_f64 v[44:45], v[106:107], s[50:51]
	v_add_f64 v[90:91], v[124:125], -v[110:111]
	v_fma_f64 v[6:7], v[172:173], s[12:13], v[6:7]
	v_fma_f64 v[16:17], v[174:175], s[6:7], -v[16:17]
	v_add_f64 v[14:15], v[38:39], v[14:15]
	v_fma_f64 v[26:27], v[76:77], s[48:49], v[42:43]
	v_add_f64 v[126:127], v[122:123], v[116:117]
	v_add_f64 v[10:11], v[32:33], v[10:11]
	v_fma_f64 v[32:33], v[88:89], s[38:39], v[44:45]
	v_mul_f64 v[38:39], v[90:91], s[44:45]
	v_fma_f64 v[166:167], v[4:5], v[68:69], -v[160:161]
	v_fma_f64 v[160:161], v[24:25], v[72:73], -v[178:179]
	v_fma_f64 v[4:5], v[118:119], s[22:23], v[12:13]
	v_add_f64 v[6:7], v[2:3], v[6:7]
	v_add_f64 v[68:69], v[74:75], v[142:143]
	v_fma_f64 v[22:23], v[100:101], s[14:15], -v[22:23]
	v_add_f64 v[16:17], v[0:1], v[16:17]
	v_add_f64 v[12:13], v[26:27], v[14:15]
	;; [unrolled: 1-line block ×3, first 2 shown]
	v_fma_f64 v[14:15], v[126:127], s[36:37], v[38:39]
	v_add_f64 v[72:73], v[166:167], -v[160:161]
	v_add_f64 v[4:5], v[4:5], v[6:7]
	v_fma_f64 v[6:7], v[102:103], s[20:21], v[18:19]
	v_mul_f64 v[18:19], v[68:69], s[46:47]
	v_add_f64 v[140:141], v[74:75], -v[142:143]
	v_add_f64 v[16:17], v[22:23], v[16:17]
	v_fma_f64 v[20:21], v[86:87], s[10:11], -v[20:21]
	v_add_f64 v[134:135], v[166:167], v[160:161]
	v_add_f64 v[10:11], v[14:15], v[10:11]
	v_fma_f64 v[8:9], v[80:81], s[26:27], -v[8:9]
	v_add_f64 v[4:5], v[6:7], v[4:5]
	v_fma_f64 v[6:7], v[82:83], s[40:41], v[28:29]
	v_fma_f64 v[24:25], v[72:73], s[52:53], v[18:19]
	v_mul_f64 v[22:23], v[140:141], s[54:55]
	v_add_f64 v[14:15], v[20:21], v[16:17]
	v_fma_f64 v[26:27], v[78:79], s[34:35], v[34:35]
	v_mul_f64 v[28:29], v[40:41], s[10:11]
	v_mul_f64 v[16:17], v[176:177], s[20:21]
	v_fma_f64 v[30:31], v[84:85], s[50:51], v[30:31]
	v_add_f64 v[4:5], v[6:7], v[4:5]
	v_add_f64 v[6:7], v[24:25], v[12:13]
	v_fma_f64 v[12:13], v[134:135], s[46:47], v[22:23]
	v_add_f64 v[8:9], v[8:9], v[14:15]
	v_fma_f64 v[14:15], v[98:99], s[24:25], -v[36:37]
	v_fma_f64 v[24:25], v[172:173], s[16:17], v[28:29]
	v_mul_f64 v[34:35], v[154:155], s[46:47]
	v_mul_f64 v[36:37], v[108:109], s[52:53]
	v_add_f64 v[20:21], v[26:27], v[4:5]
	v_mul_f64 v[26:27], v[158:159], s[38:39]
	v_add_f64 v[4:5], v[12:13], v[10:11]
	v_fma_f64 v[10:11], v[174:175], s[10:11], v[16:17]
	v_mul_f64 v[12:13], v[120:121], s[50:51]
	v_add_f64 v[8:9], v[14:15], v[8:9]
	v_fma_f64 v[14:15], v[88:89], s[38:39], -v[44:45]
	v_add_f64 v[24:25], v[2:3], v[24:25]
	v_add_f64 v[20:21], v[30:31], v[20:21]
	v_fma_f64 v[32:33], v[118:119], s[42:43], v[26:27]
	v_fma_f64 v[42:43], v[76:77], s[44:45], v[42:43]
	v_add_f64 v[10:11], v[0:1], v[10:11]
	v_fma_f64 v[30:31], v[100:101], s[38:39], v[12:13]
	v_mul_f64 v[44:45], v[146:147], s[24:25]
	v_add_f64 v[8:9], v[14:15], v[8:9]
	v_fma_f64 v[14:15], v[126:127], s[36:37], -v[38:39]
	v_mul_f64 v[38:39], v[114:115], s[28:29]
	v_add_f64 v[24:25], v[32:33], v[24:25]
	v_fma_f64 v[32:33], v[102:103], s[54:55], v[34:35]
	v_add_f64 v[20:21], v[42:43], v[20:21]
	v_add_f64 v[10:11], v[30:31], v[10:11]
	v_fma_f64 v[30:31], v[86:87], s[46:47], v[36:37]
	v_mul_f64 v[46:47], v[144:145], s[14:15]
	v_add_f64 v[8:9], v[14:15], v[8:9]
	v_fma_f64 v[14:15], v[72:73], s[54:55], v[18:19]
	v_mul_f64 v[42:43], v[104:105], s[18:19]
	;; [unrolled: 3-line block ×3, first 2 shown]
	v_add_f64 v[18:19], v[30:31], v[10:11]
	v_fma_f64 v[30:31], v[80:81], s[24:25], v[38:39]
	v_fma_f64 v[26:27], v[118:119], s[50:51], v[26:27]
	v_add_f64 v[10:11], v[14:15], v[20:21]
	v_fma_f64 v[14:15], v[172:173], s[20:21], v[28:29]
	v_fma_f64 v[20:21], v[98:99], s[14:15], v[42:43]
	v_add_f64 v[24:25], v[32:33], v[24:25]
	v_fma_f64 v[32:33], v[78:79], s[22:23], v[46:47]
	v_mul_f64 v[28:29], v[106:107], s[12:13]
	v_add_f64 v[18:19], v[30:31], v[18:19]
	v_fma_f64 v[16:17], v[174:175], s[10:11], -v[16:17]
	v_fma_f64 v[22:23], v[134:135], s[46:47], -v[22:23]
	v_add_f64 v[14:15], v[2:3], v[14:15]
	v_fma_f64 v[30:31], v[84:85], s[8:9], v[178:179]
	v_mul_f64 v[180:181], v[90:91], s[40:41]
	v_add_f64 v[24:25], v[32:33], v[24:25]
	v_mul_f64 v[32:33], v[60:61], s[26:27]
	v_add_f64 v[18:19], v[20:21], v[18:19]
	v_fma_f64 v[20:21], v[88:89], s[6:7], v[28:29]
	v_fma_f64 v[12:13], v[100:101], s[38:39], -v[12:13]
	v_add_f64 v[16:17], v[0:1], v[16:17]
	v_add_f64 v[14:15], v[26:27], v[14:15]
	v_fma_f64 v[26:27], v[102:103], s[52:53], v[34:35]
	v_add_f64 v[24:25], v[30:31], v[24:25]
	v_fma_f64 v[30:31], v[76:77], s[30:31], v[32:33]
	v_mul_f64 v[34:35], v[68:69], s[36:37]
	v_add_f64 v[18:19], v[20:21], v[18:19]
	v_fma_f64 v[20:21], v[126:127], s[26:27], v[180:181]
	v_add_f64 v[8:9], v[22:23], v[8:9]
	v_add_f64 v[12:13], v[12:13], v[16:17]
	v_fma_f64 v[16:17], v[86:87], s[46:47], -v[36:37]
	v_add_f64 v[14:15], v[26:27], v[14:15]
	v_fma_f64 v[22:23], v[82:83], s[28:29], v[44:45]
	v_add_f64 v[24:25], v[30:31], v[24:25]
	v_mul_f64 v[30:31], v[40:41], s[24:25]
	v_add_f64 v[18:19], v[20:21], v[18:19]
	v_fma_f64 v[20:21], v[72:73], s[48:49], v[34:35]
	v_fma_f64 v[36:37], v[78:79], s[18:19], v[46:47]
	v_add_f64 v[12:13], v[16:17], v[12:13]
	v_fma_f64 v[16:17], v[80:81], s[24:25], -v[38:39]
	v_add_f64 v[22:23], v[22:23], v[14:15]
	v_mul_f64 v[38:39], v[176:177], s[34:35]
	v_mul_f64 v[44:45], v[158:159], s[36:37]
	;; [unrolled: 1-line block ×3, first 2 shown]
	v_add_f64 v[14:15], v[20:21], v[24:25]
	v_fma_f64 v[24:25], v[172:173], s[28:29], v[30:31]
	v_fma_f64 v[46:47], v[84:85], s[12:13], v[178:179]
	v_add_f64 v[12:13], v[16:17], v[12:13]
	v_fma_f64 v[16:17], v[98:99], s[14:15], -v[42:43]
	v_add_f64 v[22:23], v[36:37], v[22:23]
	v_fma_f64 v[36:37], v[174:175], s[24:25], v[38:39]
	v_mul_f64 v[42:43], v[120:121], s[48:49]
	v_fma_f64 v[178:179], v[118:119], s[44:45], v[44:45]
	v_add_f64 v[24:25], v[2:3], v[24:25]
	v_mul_f64 v[184:185], v[154:155], s[14:15]
	v_mul_f64 v[186:187], v[108:109], s[18:19]
	v_add_f64 v[12:13], v[16:17], v[12:13]
	v_fma_f64 v[16:17], v[88:89], s[6:7], -v[28:29]
	v_add_f64 v[28:29], v[0:1], v[36:37]
	v_fma_f64 v[36:37], v[100:101], s[36:37], v[42:43]
	v_fma_f64 v[20:21], v[134:135], s[36:37], v[26:27]
	v_add_f64 v[22:23], v[46:47], v[22:23]
	v_add_f64 v[24:25], v[178:179], v[24:25]
	v_fma_f64 v[46:47], v[102:103], s[22:23], v[184:185]
	v_mul_f64 v[178:179], v[146:147], s[10:11]
	v_fma_f64 v[32:33], v[76:77], s[40:41], v[32:33]
	v_mul_f64 v[188:189], v[114:115], s[20:21]
	v_add_f64 v[28:29], v[36:37], v[28:29]
	v_fma_f64 v[36:37], v[86:87], s[14:15], v[186:187]
	v_add_f64 v[16:17], v[16:17], v[12:13]
	v_mul_f64 v[190:191], v[144:145], s[46:47]
	v_add_f64 v[24:25], v[46:47], v[24:25]
	v_fma_f64 v[46:47], v[82:83], s[16:17], v[178:179]
	v_add_f64 v[12:13], v[20:21], v[18:19]
	v_add_f64 v[18:19], v[32:33], v[22:23]
	v_fma_f64 v[22:23], v[80:81], s[10:11], v[188:189]
	v_add_f64 v[20:21], v[36:37], v[28:29]
	v_fma_f64 v[180:181], v[126:127], s[26:27], -v[180:181]
	v_fma_f64 v[32:33], v[78:79], s[52:53], v[190:191]
	v_mul_f64 v[36:37], v[132:133], s[26:27]
	v_add_f64 v[24:25], v[46:47], v[24:25]
	v_fma_f64 v[26:27], v[134:135], s[36:37], -v[26:27]
	v_fma_f64 v[44:45], v[118:119], s[48:49], v[44:45]
	v_fma_f64 v[34:35], v[72:73], s[44:45], v[34:35]
	v_add_f64 v[20:21], v[22:23], v[20:21]
	v_fma_f64 v[22:23], v[172:173], s[34:35], v[30:31]
	v_add_f64 v[16:17], v[180:181], v[16:17]
	v_fma_f64 v[42:43], v[100:101], s[36:37], -v[42:43]
	v_add_f64 v[24:25], v[32:33], v[24:25]
	v_fma_f64 v[32:33], v[84:85], s[40:41], v[36:37]
	v_mul_f64 v[28:29], v[104:105], s[54:55]
	v_add_f64 v[18:19], v[34:35], v[18:19]
	v_mul_f64 v[34:35], v[60:61], s[6:7]
	v_add_f64 v[22:23], v[2:3], v[22:23]
	v_add_f64 v[16:17], v[26:27], v[16:17]
	v_fma_f64 v[26:27], v[102:103], s[18:19], v[184:185]
	v_mul_f64 v[46:47], v[106:107], s[30:31]
	v_add_f64 v[24:25], v[32:33], v[24:25]
	v_fma_f64 v[32:33], v[174:175], s[24:25], -v[38:39]
	v_fma_f64 v[30:31], v[98:99], s[46:47], v[28:29]
	v_fma_f64 v[38:39], v[76:77], s[8:9], v[34:35]
	v_add_f64 v[22:23], v[44:45], v[22:23]
	v_mul_f64 v[44:45], v[40:41], s[36:37]
	v_mul_f64 v[194:195], v[154:155], s[26:27]
	;; [unrolled: 1-line block ×4, first 2 shown]
	v_add_f64 v[32:33], v[0:1], v[32:33]
	v_add_f64 v[20:21], v[30:31], v[20:21]
	v_fma_f64 v[30:31], v[88:89], s[26:27], v[46:47]
	v_add_f64 v[22:23], v[26:27], v[22:23]
	v_fma_f64 v[26:27], v[82:83], s[20:21], v[178:179]
	v_fma_f64 v[184:185], v[172:173], s[48:49], v[44:45]
	v_add_f64 v[24:25], v[38:39], v[24:25]
	v_mul_f64 v[38:39], v[68:69], s[38:39]
	v_add_f64 v[32:33], v[42:43], v[32:33]
	v_fma_f64 v[42:43], v[86:87], s[14:15], -v[186:187]
	v_mul_f64 v[186:187], v[158:159], s[10:11]
	v_fma_f64 v[36:37], v[84:85], s[30:31], v[36:37]
	v_add_f64 v[22:23], v[26:27], v[22:23]
	v_fma_f64 v[26:27], v[78:79], s[54:55], v[190:191]
	v_mul_f64 v[190:191], v[176:177], s[44:45]
	v_add_f64 v[184:185], v[2:3], v[184:185]
	v_fma_f64 v[28:29], v[98:99], s[46:47], -v[28:29]
	v_add_f64 v[32:33], v[42:43], v[32:33]
	v_fma_f64 v[42:43], v[80:81], s[10:11], -v[188:189]
	v_fma_f64 v[188:189], v[118:119], s[20:21], v[186:187]
	v_fma_f64 v[198:199], v[100:101], s[10:11], v[196:197]
	v_add_f64 v[22:23], v[26:27], v[22:23]
	v_fma_f64 v[26:27], v[174:175], s[36:37], v[190:191]
	v_mul_f64 v[200:201], v[108:109], s[40:41]
	v_add_f64 v[20:21], v[30:31], v[20:21]
	v_fma_f64 v[30:31], v[126:127], s[6:7], v[180:181]
	v_add_f64 v[32:33], v[42:43], v[32:33]
	v_add_f64 v[42:43], v[188:189], v[184:185]
	v_fma_f64 v[184:185], v[102:103], s[30:31], v[194:195]
	v_mul_f64 v[188:189], v[146:147], s[38:39]
	v_add_f64 v[26:27], v[0:1], v[26:27]
	v_fma_f64 v[178:179], v[72:73], s[42:43], v[38:39]
	v_add_f64 v[36:37], v[36:37], v[22:23]
	v_add_f64 v[20:21], v[30:31], v[20:21]
	v_add_f64 v[22:23], v[28:29], v[32:33]
	v_fma_f64 v[28:29], v[88:89], s[26:27], -v[46:47]
	v_add_f64 v[32:33], v[184:185], v[42:43]
	v_fma_f64 v[42:43], v[82:83], s[50:51], v[188:189]
	v_mul_f64 v[46:47], v[144:145], s[6:7]
	v_add_f64 v[26:27], v[198:199], v[26:27]
	v_fma_f64 v[184:185], v[86:87], s[26:27], v[200:201]
	v_mul_f64 v[198:199], v[114:115], s[42:43]
	v_mul_f64 v[30:31], v[140:141], s[50:51]
	v_fma_f64 v[34:35], v[76:77], s[12:13], v[34:35]
	v_add_f64 v[28:29], v[28:29], v[22:23]
	v_fma_f64 v[180:181], v[126:127], s[6:7], -v[180:181]
	v_add_f64 v[32:33], v[42:43], v[32:33]
	v_fma_f64 v[42:43], v[78:79], s[8:9], v[46:47]
	v_mul_f64 v[202:203], v[132:133], s[46:47]
	v_add_f64 v[26:27], v[184:185], v[26:27]
	v_fma_f64 v[184:185], v[80:81], s[38:39], v[198:199]
	v_add_f64 v[22:23], v[178:179], v[24:25]
	v_mul_f64 v[178:179], v[104:105], s[12:13]
	v_fma_f64 v[192:193], v[134:135], s[38:39], v[30:31]
	v_add_f64 v[24:25], v[34:35], v[36:37]
	v_add_f64 v[28:29], v[180:181], v[28:29]
	;; [unrolled: 1-line block ×3, first 2 shown]
	v_fma_f64 v[34:35], v[84:85], s[52:53], v[202:203]
	v_add_f64 v[26:27], v[184:185], v[26:27]
	v_fma_f64 v[36:37], v[172:173], s[44:45], v[44:45]
	v_fma_f64 v[42:43], v[98:99], s[6:7], v[178:179]
	v_mul_f64 v[44:45], v[106:107], s[54:55]
	v_fma_f64 v[38:39], v[72:73], s[50:51], v[38:39]
	v_mul_f64 v[180:181], v[60:61], s[14:15]
	v_add_f64 v[20:21], v[192:193], v[20:21]
	v_fma_f64 v[30:31], v[134:135], s[38:39], -v[30:31]
	v_add_f64 v[32:33], v[34:35], v[32:33]
	v_fma_f64 v[34:35], v[118:119], s[16:17], v[186:187]
	v_add_f64 v[36:37], v[2:3], v[36:37]
	v_add_f64 v[42:43], v[42:43], v[26:27]
	v_fma_f64 v[184:185], v[88:89], s[46:47], v[44:45]
	v_mul_f64 v[186:187], v[90:91], s[18:19]
	v_fma_f64 v[192:193], v[76:77], s[22:23], v[180:181]
	v_add_f64 v[26:27], v[38:39], v[24:25]
	v_mul_f64 v[38:39], v[68:69], s[24:25]
	v_add_f64 v[24:25], v[30:31], v[28:29]
	v_add_f64 v[28:29], v[34:35], v[36:37]
	v_fma_f64 v[30:31], v[102:103], s[40:41], v[194:195]
	v_add_f64 v[34:35], v[184:185], v[42:43]
	v_fma_f64 v[36:37], v[126:127], s[14:15], v[186:187]
	v_add_f64 v[32:33], v[192:193], v[32:33]
	v_fma_f64 v[42:43], v[174:175], s[36:37], -v[190:191]
	v_fma_f64 v[184:185], v[72:73], s[28:29], v[38:39]
	v_mul_f64 v[190:191], v[40:41], s[46:47]
	v_mul_f64 v[192:193], v[140:141], s[34:35]
	v_add_f64 v[28:29], v[30:31], v[28:29]
	v_fma_f64 v[188:189], v[82:83], s[42:43], v[188:189]
	v_add_f64 v[34:35], v[36:37], v[34:35]
	v_fma_f64 v[36:37], v[100:101], s[10:11], -v[196:197]
	v_add_f64 v[42:43], v[0:1], v[42:43]
	v_add_f64 v[30:31], v[184:185], v[32:33]
	v_fma_f64 v[32:33], v[172:173], s[54:55], v[190:191]
	v_mul_f64 v[184:185], v[158:159], s[6:7]
	v_fma_f64 v[194:195], v[134:135], s[24:25], v[192:193]
	v_mul_f64 v[196:197], v[176:177], s[52:53]
	v_add_f64 v[188:189], v[188:189], v[28:29]
	v_fma_f64 v[46:47], v[78:79], s[12:13], v[46:47]
	v_add_f64 v[36:37], v[36:37], v[42:43]
	v_fma_f64 v[42:43], v[86:87], s[26:27], -v[200:201]
	v_add_f64 v[32:33], v[2:3], v[32:33]
	v_fma_f64 v[200:201], v[118:119], s[8:9], v[184:185]
	v_mul_f64 v[204:205], v[154:155], s[36:37]
	v_add_f64 v[28:29], v[194:195], v[34:35]
	v_fma_f64 v[34:35], v[174:175], s[46:47], v[196:197]
	v_mul_f64 v[194:195], v[120:121], s[12:13]
	v_add_f64 v[46:47], v[46:47], v[188:189]
	v_add_f64 v[36:37], v[42:43], v[36:37]
	v_fma_f64 v[42:43], v[80:81], s[38:39], -v[198:199]
	v_add_f64 v[32:33], v[200:201], v[32:33]
	v_fma_f64 v[188:189], v[102:103], s[44:45], v[204:205]
	v_mul_f64 v[198:199], v[146:147], s[14:15]
	v_add_f64 v[34:35], v[0:1], v[34:35]
	v_fma_f64 v[200:201], v[100:101], s[6:7], v[194:195]
	v_mul_f64 v[206:207], v[108:109], s[48:49]
	v_fma_f64 v[202:203], v[84:85], s[54:55], v[202:203]
	v_add_f64 v[36:37], v[42:43], v[36:37]
	v_fma_f64 v[42:43], v[98:99], s[6:7], -v[178:179]
	v_add_f64 v[32:33], v[188:189], v[32:33]
	v_fma_f64 v[178:179], v[82:83], s[18:19], v[198:199]
	v_mul_f64 v[188:189], v[144:145], s[38:39]
	v_add_f64 v[34:35], v[200:201], v[34:35]
	v_fma_f64 v[200:201], v[86:87], s[36:37], v[206:207]
	v_mul_f64 v[208:209], v[114:115], s[22:23]
	v_add_f64 v[46:47], v[202:203], v[46:47]
	v_add_f64 v[36:37], v[42:43], v[36:37]
	v_fma_f64 v[42:43], v[88:89], s[46:47], -v[44:45]
	v_add_f64 v[32:33], v[178:179], v[32:33]
	v_fma_f64 v[44:45], v[78:79], s[50:51], v[188:189]
	v_mul_f64 v[178:179], v[132:133], s[10:11]
	v_add_f64 v[34:35], v[200:201], v[34:35]
	v_fma_f64 v[200:201], v[80:81], s[14:15], v[208:209]
	v_mul_f64 v[202:203], v[104:105], s[42:43]
	v_fma_f64 v[180:181], v[76:77], s[18:19], v[180:181]
	v_add_f64 v[36:37], v[42:43], v[36:37]
	v_fma_f64 v[42:43], v[126:127], s[14:15], -v[186:187]
	v_add_f64 v[32:33], v[44:45], v[32:33]
	v_fma_f64 v[44:45], v[84:85], s[16:17], v[178:179]
	v_mul_f64 v[186:187], v[60:61], s[24:25]
	v_add_f64 v[34:35], v[200:201], v[34:35]
	v_fma_f64 v[200:201], v[98:99], s[38:39], v[202:203]
	v_mul_f64 v[210:211], v[106:107], s[20:21]
	v_add_f64 v[46:47], v[180:181], v[46:47]
	v_add_f64 v[36:37], v[42:43], v[36:37]
	v_fma_f64 v[38:39], v[72:73], s[34:35], v[38:39]
	v_add_f64 v[32:33], v[44:45], v[32:33]
	v_fma_f64 v[42:43], v[76:77], s[34:35], v[186:187]
	v_fma_f64 v[44:45], v[172:173], s[52:53], v[190:191]
	v_add_f64 v[180:181], v[200:201], v[34:35]
	v_fma_f64 v[190:191], v[88:89], s[10:11], v[210:211]
	v_mul_f64 v[200:201], v[90:91], s[28:29]
	v_mul_f64 v[212:213], v[68:69], s[26:27]
	v_fma_f64 v[192:193], v[134:135], s[24:25], -v[192:193]
	v_add_f64 v[34:35], v[38:39], v[46:47]
	v_fma_f64 v[38:39], v[118:119], s[12:13], v[184:185]
	v_add_f64 v[44:45], v[2:3], v[44:45]
	v_add_f64 v[42:43], v[42:43], v[32:33]
	;; [unrolled: 1-line block ×3, first 2 shown]
	v_fma_f64 v[180:181], v[126:127], s[24:25], v[200:201]
	v_fma_f64 v[184:185], v[72:73], s[30:31], v[212:213]
	v_add_f64 v[32:33], v[192:193], v[36:37]
	v_mul_f64 v[192:193], v[40:41], s[38:39]
	v_mul_f64 v[214:215], v[120:121], s[34:35]
	v_add_f64 v[36:37], v[38:39], v[44:45]
	v_fma_f64 v[44:45], v[102:103], s[48:49], v[204:205]
	v_mul_f64 v[204:205], v[176:177], s[42:43]
	v_add_f64 v[46:47], v[180:181], v[46:47]
	v_add_f64 v[38:39], v[184:185], v[42:43]
	v_fma_f64 v[180:181], v[174:175], s[46:47], -v[196:197]
	v_fma_f64 v[184:185], v[172:173], s[50:51], v[192:193]
	v_mul_f64 v[196:197], v[158:159], s[24:25]
	v_fma_f64 v[198:199], v[82:83], s[22:23], v[198:199]
	v_add_f64 v[36:37], v[44:45], v[36:37]
	v_fma_f64 v[44:45], v[174:175], s[38:39], v[204:205]
	v_fma_f64 v[194:195], v[100:101], s[6:7], -v[194:195]
	v_mul_f64 v[218:219], v[154:155], s[6:7]
	v_add_f64 v[180:181], v[0:1], v[180:181]
	v_add_f64 v[184:185], v[2:3], v[184:185]
	v_fma_f64 v[216:217], v[118:119], s[28:29], v[196:197]
	v_fma_f64 v[220:221], v[100:101], s[24:25], v[214:215]
	v_mul_f64 v[222:223], v[108:109], s[8:9]
	v_add_f64 v[44:45], v[0:1], v[44:45]
	v_add_f64 v[36:37], v[198:199], v[36:37]
	v_fma_f64 v[198:199], v[102:103], s[12:13], v[218:219]
	v_add_f64 v[180:181], v[194:195], v[180:181]
	v_fma_f64 v[194:195], v[86:87], s[36:37], -v[206:207]
	v_add_f64 v[184:185], v[216:217], v[184:185]
	v_mul_f64 v[206:207], v[146:147], s[36:37]
	v_fma_f64 v[216:217], v[86:87], s[6:7], v[222:223]
	v_add_f64 v[44:45], v[220:221], v[44:45]
	v_mul_f64 v[220:221], v[114:115], s[48:49]
	v_fma_f64 v[188:189], v[78:79], s[42:43], v[188:189]
	v_mul_f64 v[224:225], v[104:105], s[40:41]
	v_add_f64 v[180:181], v[194:195], v[180:181]
	v_fma_f64 v[194:195], v[80:81], s[14:15], -v[208:209]
	v_add_f64 v[184:185], v[198:199], v[184:185]
	v_fma_f64 v[198:199], v[82:83], s[44:45], v[206:207]
	v_mul_f64 v[208:209], v[144:145], s[26:27]
	v_add_f64 v[44:45], v[216:217], v[44:45]
	v_fma_f64 v[216:217], v[80:81], s[36:37], v[220:221]
	v_add_f64 v[36:37], v[188:189], v[36:37]
	v_fma_f64 v[188:189], v[98:99], s[38:39], -v[202:203]
	v_add_f64 v[180:181], v[194:195], v[180:181]
	v_fma_f64 v[202:203], v[98:99], s[26:27], v[224:225]
	v_add_f64 v[184:185], v[198:199], v[184:185]
	v_fma_f64 v[194:195], v[78:79], s[30:31], v[208:209]
	v_mul_f64 v[198:199], v[132:133], s[14:15]
	v_add_f64 v[44:45], v[216:217], v[44:45]
	v_mul_f64 v[216:217], v[106:107], s[18:19]
	v_fma_f64 v[178:179], v[84:85], s[20:21], v[178:179]
	v_add_f64 v[180:181], v[188:189], v[180:181]
	v_fma_f64 v[188:189], v[88:89], s[10:11], -v[210:211]
	v_mul_f64 v[210:211], v[60:61], s[46:47]
	v_add_f64 v[184:185], v[194:195], v[184:185]
	v_fma_f64 v[194:195], v[84:85], s[22:23], v[198:199]
	v_mul_f64 v[190:191], v[140:141], s[40:41]
	v_add_f64 v[44:45], v[202:203], v[44:45]
	v_fma_f64 v[202:203], v[88:89], s[14:15], v[216:217]
	v_add_f64 v[36:37], v[178:179], v[36:37]
	v_mul_f64 v[226:227], v[90:91], s[52:53]
	v_fma_f64 v[186:187], v[76:77], s[28:29], v[186:187]
	v_add_f64 v[188:189], v[188:189], v[180:181]
	v_fma_f64 v[200:201], v[126:127], s[24:25], -v[200:201]
	v_add_f64 v[184:185], v[194:195], v[184:185]
	v_fma_f64 v[194:195], v[76:77], s[54:55], v[210:211]
	v_mul_f64 v[180:181], v[68:69], s[10:11]
	v_fma_f64 v[42:43], v[134:135], s[26:27], v[190:191]
	v_add_f64 v[44:45], v[202:203], v[44:45]
	v_fma_f64 v[202:203], v[126:127], s[46:47], v[226:227]
	v_mul_f64 v[178:179], v[140:141], s[20:21]
	v_add_f64 v[186:187], v[186:187], v[36:37]
	v_add_f64 v[188:189], v[200:201], v[188:189]
	v_fma_f64 v[200:201], v[72:73], s[40:41], v[212:213]
	v_fma_f64 v[190:191], v[134:135], s[26:27], -v[190:191]
	v_add_f64 v[184:185], v[194:195], v[184:185]
	v_fma_f64 v[194:195], v[72:73], s[16:17], v[180:181]
	v_fma_f64 v[192:193], v[172:173], s[42:43], v[192:193]
	v_add_f64 v[202:203], v[202:203], v[44:45]
	v_fma_f64 v[212:213], v[134:135], s[10:11], v[178:179]
	v_mul_f64 v[228:229], v[40:41], s[26:27]
	v_add_f64 v[36:37], v[42:43], v[46:47]
	v_add_f64 v[46:47], v[200:201], v[186:187]
	;; [unrolled: 1-line block ×4, first 2 shown]
	v_mul_f64 v[184:185], v[40:41], s[14:15]
	v_mul_f64 v[188:189], v[176:177], s[30:31]
	v_add_f64 v[190:191], v[2:3], v[192:193]
	v_fma_f64 v[192:193], v[118:119], s[34:35], v[196:197]
	v_mul_f64 v[176:177], v[176:177], s[18:19]
	v_fma_f64 v[200:201], v[174:175], s[38:39], -v[204:205]
	v_add_f64 v[40:41], v[212:213], v[202:203]
	v_fma_f64 v[186:187], v[172:173], s[40:41], v[228:229]
	v_fma_f64 v[194:195], v[172:173], s[30:31], v[228:229]
	;; [unrolled: 1-line block ×5, first 2 shown]
	v_fma_f64 v[188:189], v[174:175], s[26:27], -v[188:189]
	v_add_f64 v[190:191], v[192:193], v[190:191]
	v_fma_f64 v[192:193], v[102:103], s[8:9], v[218:219]
	v_fma_f64 v[202:203], v[174:175], s[14:15], v[176:177]
	v_fma_f64 v[174:175], v[174:175], s[14:15], -v[176:177]
	v_add_f64 v[176:177], v[0:1], v[200:201]
	v_mul_f64 v[200:201], v[158:159], s[46:47]
	v_add_f64 v[186:187], v[2:3], v[186:187]
	v_fma_f64 v[204:205], v[100:101], s[24:25], -v[214:215]
	v_mul_f64 v[212:213], v[154:155], s[24:25]
	v_add_f64 v[190:191], v[192:193], v[190:191]
	v_fma_f64 v[192:193], v[82:83], s[48:49], v[206:207]
	v_add_f64 v[194:195], v[2:3], v[194:195]
	v_add_f64 v[196:197], v[2:3], v[196:197]
	v_fma_f64 v[206:207], v[118:119], s[54:55], v[200:201]
	v_add_f64 v[172:173], v[2:3], v[172:173]
	v_add_f64 v[176:177], v[204:205], v[176:177]
	v_fma_f64 v[204:205], v[86:87], s[6:7], -v[222:223]
	v_add_f64 v[2:3], v[2:3], v[170:171]
	v_add_f64 v[184:185], v[0:1], v[184:185]
	;; [unrolled: 1-line block ×5, first 2 shown]
	v_fma_f64 v[186:187], v[102:103], s[28:29], v[212:213]
	v_mul_f64 v[206:207], v[146:147], s[6:7]
	v_add_f64 v[174:175], v[0:1], v[174:175]
	v_add_f64 v[176:177], v[204:205], v[176:177]
	v_fma_f64 v[204:205], v[80:81], s[36:37], -v[220:221]
	v_add_f64 v[0:1], v[0:1], v[168:169]
	v_mul_f64 v[214:215], v[132:133], s[36:37]
	v_add_f64 v[2:3], v[2:3], v[164:165]
	v_add_f64 v[168:169], v[186:187], v[170:171]
	v_fma_f64 v[170:171], v[82:83], s[8:9], v[206:207]
	v_mul_f64 v[186:187], v[144:145], s[10:11]
	v_add_f64 v[190:191], v[192:193], v[190:191]
	v_add_f64 v[176:177], v[204:205], v[176:177]
	v_fma_f64 v[204:205], v[98:99], s[26:27], -v[224:225]
	v_add_f64 v[0:1], v[0:1], v[162:163]
	v_fma_f64 v[192:193], v[78:79], s[40:41], v[208:209]
	v_add_f64 v[2:3], v[2:3], v[152:153]
	v_add_f64 v[168:169], v[170:171], v[168:169]
	v_fma_f64 v[170:171], v[78:79], s[20:21], v[186:187]
	v_mul_f64 v[208:209], v[108:109], s[34:35]
	v_mul_f64 v[218:219], v[114:115], s[12:13]
	v_add_f64 v[176:177], v[204:205], v[176:177]
	v_fma_f64 v[204:205], v[88:89], s[14:15], -v[216:217]
	v_mul_f64 v[216:217], v[60:61], s[38:39]
	v_add_f64 v[0:1], v[0:1], v[156:157]
	v_add_f64 v[190:191], v[192:193], v[190:191]
	;; [unrolled: 1-line block ×3, first 2 shown]
	v_fma_f64 v[170:171], v[84:85], s[44:45], v[214:215]
	v_fma_f64 v[192:193], v[84:85], s[18:19], v[198:199]
	v_mul_f64 v[198:199], v[120:121], s[52:53]
	v_add_f64 v[2:3], v[2:3], v[138:139]
	v_fma_f64 v[200:201], v[118:119], s[52:53], v[200:201]
	v_add_f64 v[0:1], v[0:1], v[136:137]
	v_fma_f64 v[210:211], v[76:77], s[52:53], v[210:211]
	v_mul_f64 v[220:221], v[104:105], s[16:17]
	v_add_f64 v[168:169], v[170:171], v[168:169]
	v_fma_f64 v[170:171], v[76:77], s[42:43], v[216:217]
	v_add_f64 v[190:191], v[192:193], v[190:191]
	v_fma_f64 v[192:193], v[100:101], s[46:47], v[198:199]
	v_add_f64 v[2:3], v[2:3], v[130:131]
	v_add_f64 v[0:1], v[0:1], v[128:129]
	;; [unrolled: 1-line block ×3, first 2 shown]
	v_fma_f64 v[200:201], v[102:103], s[34:35], v[212:213]
	v_fma_f64 v[138:139], v[80:81], s[6:7], -v[218:219]
	v_add_f64 v[168:169], v[170:171], v[168:169]
	v_fma_f64 v[170:171], v[100:101], s[46:47], -v[198:199]
	v_add_f64 v[184:185], v[192:193], v[184:185]
	v_fma_f64 v[192:193], v[86:87], s[24:25], v[208:209]
	v_add_f64 v[2:3], v[2:3], v[148:149]
	v_add_f64 v[0:1], v[0:1], v[150:151]
	;; [unrolled: 1-line block ×3, first 2 shown]
	v_mul_f64 v[210:211], v[106:107], s[48:49]
	v_add_f64 v[194:195], v[200:201], v[194:195]
	v_add_f64 v[170:171], v[170:171], v[188:189]
	v_fma_f64 v[188:189], v[86:87], s[24:25], -v[208:209]
	v_add_f64 v[184:185], v[192:193], v[184:185]
	v_fma_f64 v[192:193], v[80:81], s[6:7], v[218:219]
	v_add_f64 v[2:3], v[2:3], v[124:125]
	v_add_f64 v[0:1], v[0:1], v[122:123]
	v_fma_f64 v[200:201], v[82:83], s[12:13], v[206:207]
	v_mul_f64 v[158:159], v[158:159], s[26:27]
	v_fma_f64 v[128:129], v[98:99], s[10:11], -v[220:221]
	v_add_f64 v[170:171], v[188:189], v[170:171]
	v_fma_f64 v[164:165], v[88:89], s[36:37], v[210:211]
	v_add_f64 v[184:185], v[192:193], v[184:185]
	v_fma_f64 v[192:193], v[98:99], s[10:11], v[220:221]
	v_add_f64 v[2:3], v[2:3], v[74:75]
	v_add_f64 v[0:1], v[0:1], v[166:167]
	;; [unrolled: 1-line block ×3, first 2 shown]
	v_fma_f64 v[186:187], v[78:79], s[16:17], v[186:187]
	v_add_f64 v[130:131], v[138:139], v[170:171]
	v_mul_f64 v[156:157], v[90:91], s[50:51]
	v_mul_f64 v[154:155], v[154:155], s[38:39]
	v_add_f64 v[184:185], v[192:193], v[184:185]
	v_mul_f64 v[120:121], v[120:121], s[30:31]
	v_fma_f64 v[74:75], v[118:119], s[30:31], v[158:159]
	v_add_f64 v[2:3], v[2:3], v[142:143]
	v_add_f64 v[0:1], v[0:1], v[160:161]
	;; [unrolled: 1-line block ×3, first 2 shown]
	v_fma_f64 v[130:131], v[88:89], s[36:37], -v[210:211]
	v_add_f64 v[162:163], v[186:187], v[162:163]
	v_add_f64 v[152:153], v[164:165], v[184:185]
	v_fma_f64 v[164:165], v[118:119], s[40:41], v[158:159]
	v_fma_f64 v[136:137], v[84:85], s[48:49], v[214:215]
	;; [unrolled: 1-line block ×3, first 2 shown]
	v_mul_f64 v[146:147], v[146:147], s[46:47]
	v_fma_f64 v[118:119], v[100:101], s[26:27], v[120:121]
	v_add_f64 v[122:123], v[130:131], v[128:129]
	v_fma_f64 v[130:131], v[126:127], s[38:39], -v[156:157]
	v_mul_f64 v[108:109], v[108:109], s[42:43]
	v_fma_f64 v[102:103], v[102:103], s[42:43], v[154:155]
	v_add_f64 v[74:75], v[74:75], v[172:173]
	v_fma_f64 v[100:101], v[100:101], s[26:27], -v[120:121]
	v_add_f64 v[2:3], v[2:3], v[110:111]
	v_add_f64 v[0:1], v[0:1], v[116:117]
	v_fma_f64 v[186:187], v[126:127], s[38:39], v[156:157]
	v_add_f64 v[136:137], v[136:137], v[162:163]
	v_fma_f64 v[162:163], v[82:83], s[54:55], v[146:147]
	v_mul_f64 v[144:145], v[144:145], s[36:37]
	v_add_f64 v[122:123], v[130:131], v[122:123]
	v_fma_f64 v[130:131], v[86:87], s[38:39], v[108:109]
	v_mul_f64 v[114:115], v[114:115], s[52:53]
	v_fma_f64 v[82:83], v[82:83], s[52:53], v[146:147]
	v_add_f64 v[74:75], v[102:103], v[74:75]
	v_fma_f64 v[86:87], v[86:87], s[38:39], -v[108:109]
	v_add_f64 v[100:101], v[100:101], v[174:175]
	v_add_f64 v[164:165], v[164:165], v[196:197]
	;; [unrolled: 1-line block ×6, first 2 shown]
	v_fma_f64 v[152:153], v[78:79], s[48:49], v[144:145]
	v_fma_f64 v[108:109], v[80:81], s[46:47], v[114:115]
	;; [unrolled: 1-line block ×3, first 2 shown]
	v_add_f64 v[74:75], v[82:83], v[74:75]
	v_mul_f64 v[82:83], v[104:105], s[44:45]
	v_fma_f64 v[80:81], v[80:81], s[46:47], -v[114:115]
	v_add_f64 v[86:87], v[86:87], v[100:101]
	v_add_f64 v[138:139], v[184:185], v[164:165]
	v_add_f64 v[102:103], v[130:131], v[118:119]
	v_add_f64 v[2:3], v[2:3], v[50:51]
	v_add_f64 v[0:1], v[0:1], v[48:49]
	v_fma_f64 v[148:149], v[76:77], s[50:51], v[216:217]
	v_mul_f64 v[128:129], v[132:133], s[24:25]
	v_add_f64 v[74:75], v[78:79], v[74:75]
	v_fma_f64 v[50:51], v[98:99], s[36:37], -v[82:83]
	v_add_f64 v[78:79], v[80:81], v[86:87]
	v_mul_f64 v[80:81], v[106:107], s[34:35]
	v_add_f64 v[138:139], v[162:163], v[138:139]
	v_add_f64 v[96:97], v[108:109], v[102:103]
	v_fma_f64 v[48:49], v[98:99], s[36:37], v[82:83]
	v_add_f64 v[70:71], v[2:3], v[70:71]
	v_add_f64 v[0:1], v[0:1], v[56:57]
	;; [unrolled: 1-line block ×3, first 2 shown]
	v_fma_f64 v[136:137], v[84:85], s[28:29], v[128:129]
	v_fma_f64 v[84:85], v[84:85], s[34:35], v[128:129]
	v_mul_f64 v[56:57], v[140:141], s[22:23]
	v_mul_f64 v[60:61], v[60:61], s[10:11]
	v_add_f64 v[78:79], v[50:51], v[78:79]
	v_fma_f64 v[86:87], v[88:89], s[24:25], -v[80:81]
	v_mul_f64 v[90:91], v[90:91], s[20:21]
	v_add_f64 v[132:133], v[152:153], v[138:139]
	v_fma_f64 v[80:81], v[88:89], s[24:25], v[80:81]
	v_add_f64 v[48:49], v[48:49], v[96:97]
	v_add_f64 v[58:59], v[70:71], v[58:59]
	;; [unrolled: 1-line block ×3, first 2 shown]
	v_mul_f64 v[82:83], v[68:69], s[14:15]
	v_fma_f64 v[96:97], v[76:77], s[16:17], v[60:61]
	v_fma_f64 v[60:61], v[76:77], s[20:21], v[60:61]
	;; [unrolled: 1-line block ×3, first 2 shown]
	v_fma_f64 v[98:99], v[134:135], s[14:15], -v[56:57]
	v_mul_f64 v[56:57], v[68:69], s[6:7]
	v_mul_f64 v[68:69], v[140:141], s[12:13]
	v_add_f64 v[74:75], v[84:85], v[74:75]
	v_fma_f64 v[84:85], v[126:127], s[10:11], -v[90:91]
	v_add_f64 v[52:53], v[86:87], v[78:79]
	v_add_f64 v[176:177], v[204:205], v[176:177]
	v_fma_f64 v[204:205], v[126:127], s[46:47], -v[226:227]
	v_add_f64 v[132:133], v[136:137], v[132:133]
	v_fma_f64 v[70:71], v[126:127], s[10:11], v[90:91]
	v_add_f64 v[48:49], v[80:81], v[48:49]
	v_add_f64 v[58:59], v[58:59], v[62:63]
	;; [unrolled: 1-line block ×3, first 2 shown]
	v_fma_f64 v[78:79], v[72:73], s[12:13], v[56:57]
	v_add_f64 v[60:61], v[60:61], v[74:75]
	v_fma_f64 v[74:75], v[134:135], s[6:7], -v[68:69]
	v_add_f64 v[52:53], v[84:85], v[52:53]
	v_fma_f64 v[50:51], v[72:73], s[22:23], v[82:83]
	v_add_f64 v[176:177], v[204:205], v[176:177]
	v_fma_f64 v[2:3], v[72:73], s[20:21], v[180:181]
	v_fma_f64 v[88:89], v[134:135], s[10:11], -v[178:179]
	v_fma_f64 v[82:83], v[72:73], s[18:19], v[82:83]
	v_fma_f64 v[72:73], v[72:73], s[8:9], v[56:57]
	v_add_f64 v[80:81], v[96:97], v[132:133]
	v_fma_f64 v[68:69], v[134:135], s[6:7], v[68:69]
	v_add_f64 v[70:71], v[70:71], v[48:49]
	v_add_f64 v[58:59], v[58:59], v[66:67]
	;; [unrolled: 1-line block ×13, first 2 shown]
	ds_write_b128 v183, v[56:59]
	ds_write_b128 v93, v[52:55] offset:832
	ds_write_b128 v93, v[48:51] offset:1664
	;; [unrolled: 1-line block ×16, first 2 shown]
.LBB0_26:
	s_or_b64 exec, exec, s[4:5]
	s_waitcnt lgkmcnt(0)
	s_barrier
	s_and_saveexec_b64 s[4:5], s[0:1]
	s_cbranch_execz .LBB0_28
; %bb.27:
	v_lshl_add_u32 v10, v92, 4, v182
	v_mov_b32_e32 v93, 0
	ds_read_b128 v[0:3], v10
	v_mov_b32_e32 v4, s3
	v_add_co_u32_e32 v11, vcc, s2, v94
	v_addc_co_u32_e32 v12, vcc, v4, v95, vcc
	v_lshlrev_b64 v[4:5], 4, v[92:93]
	v_add_co_u32_e32 v8, vcc, v11, v4
	v_addc_co_u32_e32 v9, vcc, v12, v5, vcc
	ds_read_b128 v[4:7], v10 offset:1088
	s_waitcnt lgkmcnt(1)
	global_store_dwordx4 v[8:9], v[0:3], off
	s_nop 0
	v_add_u32_e32 v0, 0x44, v92
	v_mov_b32_e32 v1, v93
	v_lshlrev_b64 v[0:1], 4, v[0:1]
	v_add_co_u32_e32 v0, vcc, v11, v0
	v_addc_co_u32_e32 v1, vcc, v12, v1, vcc
	s_waitcnt lgkmcnt(0)
	global_store_dwordx4 v[0:1], v[4:7], off
	ds_read_b128 v[0:3], v10 offset:2176
	v_add_u32_e32 v4, 0x88, v92
	v_mov_b32_e32 v5, v93
	v_lshlrev_b64 v[4:5], 4, v[4:5]
	v_add_co_u32_e32 v8, vcc, v11, v4
	v_addc_co_u32_e32 v9, vcc, v12, v5, vcc
	ds_read_b128 v[4:7], v10 offset:3264
	s_waitcnt lgkmcnt(1)
	global_store_dwordx4 v[8:9], v[0:3], off
	s_nop 0
	v_add_u32_e32 v0, 0xcc, v92
	v_mov_b32_e32 v1, v93
	v_lshlrev_b64 v[0:1], 4, v[0:1]
	v_add_co_u32_e32 v0, vcc, v11, v0
	v_addc_co_u32_e32 v1, vcc, v12, v1, vcc
	s_waitcnt lgkmcnt(0)
	global_store_dwordx4 v[0:1], v[4:7], off
	ds_read_b128 v[0:3], v10 offset:4352
	v_add_u32_e32 v4, 0x110, v92
	v_mov_b32_e32 v5, v93
	;; [unrolled: 17-line block ×5, first 2 shown]
	v_lshlrev_b64 v[4:5], 4, v[4:5]
	v_add_co_u32_e32 v8, vcc, v11, v4
	v_addc_co_u32_e32 v9, vcc, v12, v5, vcc
	ds_read_b128 v[4:7], v10 offset:11968
	s_waitcnt lgkmcnt(1)
	global_store_dwordx4 v[8:9], v[0:3], off
	s_nop 0
	v_add_u32_e32 v0, 0x2ec, v92
	v_mov_b32_e32 v1, v93
	v_lshlrev_b64 v[0:1], 4, v[0:1]
	v_add_u32_e32 v92, 0x330, v92
	v_add_co_u32_e32 v0, vcc, v11, v0
	v_addc_co_u32_e32 v1, vcc, v12, v1, vcc
	s_waitcnt lgkmcnt(0)
	global_store_dwordx4 v[0:1], v[4:7], off
	ds_read_b128 v[0:3], v10 offset:13056
	v_lshlrev_b64 v[4:5], 4, v[92:93]
	v_add_co_u32_e32 v4, vcc, v11, v4
	v_addc_co_u32_e32 v5, vcc, v12, v5, vcc
	s_waitcnt lgkmcnt(0)
	global_store_dwordx4 v[4:5], v[0:3], off
.LBB0_28:
	s_endpgm
	.section	.rodata,"a",@progbits
	.p2align	6, 0x0
	.amdhsa_kernel fft_rtc_fwd_len884_factors_13_4_17_wgs_204_tpt_68_halfLds_dp_ip_CI_unitstride_sbrr_C2R_dirReg
		.amdhsa_group_segment_fixed_size 0
		.amdhsa_private_segment_fixed_size 0
		.amdhsa_kernarg_size 88
		.amdhsa_user_sgpr_count 6
		.amdhsa_user_sgpr_private_segment_buffer 1
		.amdhsa_user_sgpr_dispatch_ptr 0
		.amdhsa_user_sgpr_queue_ptr 0
		.amdhsa_user_sgpr_kernarg_segment_ptr 1
		.amdhsa_user_sgpr_dispatch_id 0
		.amdhsa_user_sgpr_flat_scratch_init 0
		.amdhsa_user_sgpr_private_segment_size 0
		.amdhsa_uses_dynamic_stack 0
		.amdhsa_system_sgpr_private_segment_wavefront_offset 0
		.amdhsa_system_sgpr_workgroup_id_x 1
		.amdhsa_system_sgpr_workgroup_id_y 0
		.amdhsa_system_sgpr_workgroup_id_z 0
		.amdhsa_system_sgpr_workgroup_info 0
		.amdhsa_system_vgpr_workitem_id 0
		.amdhsa_next_free_vgpr 230
		.amdhsa_next_free_sgpr 56
		.amdhsa_reserve_vcc 1
		.amdhsa_reserve_flat_scratch 0
		.amdhsa_float_round_mode_32 0
		.amdhsa_float_round_mode_16_64 0
		.amdhsa_float_denorm_mode_32 3
		.amdhsa_float_denorm_mode_16_64 3
		.amdhsa_dx10_clamp 1
		.amdhsa_ieee_mode 1
		.amdhsa_fp16_overflow 0
		.amdhsa_exception_fp_ieee_invalid_op 0
		.amdhsa_exception_fp_denorm_src 0
		.amdhsa_exception_fp_ieee_div_zero 0
		.amdhsa_exception_fp_ieee_overflow 0
		.amdhsa_exception_fp_ieee_underflow 0
		.amdhsa_exception_fp_ieee_inexact 0
		.amdhsa_exception_int_div_zero 0
	.end_amdhsa_kernel
	.text
.Lfunc_end0:
	.size	fft_rtc_fwd_len884_factors_13_4_17_wgs_204_tpt_68_halfLds_dp_ip_CI_unitstride_sbrr_C2R_dirReg, .Lfunc_end0-fft_rtc_fwd_len884_factors_13_4_17_wgs_204_tpt_68_halfLds_dp_ip_CI_unitstride_sbrr_C2R_dirReg
                                        ; -- End function
	.section	.AMDGPU.csdata,"",@progbits
; Kernel info:
; codeLenInByte = 15880
; NumSgprs: 60
; NumVgprs: 230
; ScratchSize: 0
; MemoryBound: 0
; FloatMode: 240
; IeeeMode: 1
; LDSByteSize: 0 bytes/workgroup (compile time only)
; SGPRBlocks: 7
; VGPRBlocks: 57
; NumSGPRsForWavesPerEU: 60
; NumVGPRsForWavesPerEU: 230
; Occupancy: 1
; WaveLimiterHint : 1
; COMPUTE_PGM_RSRC2:SCRATCH_EN: 0
; COMPUTE_PGM_RSRC2:USER_SGPR: 6
; COMPUTE_PGM_RSRC2:TRAP_HANDLER: 0
; COMPUTE_PGM_RSRC2:TGID_X_EN: 1
; COMPUTE_PGM_RSRC2:TGID_Y_EN: 0
; COMPUTE_PGM_RSRC2:TGID_Z_EN: 0
; COMPUTE_PGM_RSRC2:TIDIG_COMP_CNT: 0
	.type	__hip_cuid_9727f16426875d23,@object ; @__hip_cuid_9727f16426875d23
	.section	.bss,"aw",@nobits
	.globl	__hip_cuid_9727f16426875d23
__hip_cuid_9727f16426875d23:
	.byte	0                               ; 0x0
	.size	__hip_cuid_9727f16426875d23, 1

	.ident	"AMD clang version 19.0.0git (https://github.com/RadeonOpenCompute/llvm-project roc-6.4.0 25133 c7fe45cf4b819c5991fe208aaa96edf142730f1d)"
	.section	".note.GNU-stack","",@progbits
	.addrsig
	.addrsig_sym __hip_cuid_9727f16426875d23
	.amdgpu_metadata
---
amdhsa.kernels:
  - .args:
      - .actual_access:  read_only
        .address_space:  global
        .offset:         0
        .size:           8
        .value_kind:     global_buffer
      - .offset:         8
        .size:           8
        .value_kind:     by_value
      - .actual_access:  read_only
        .address_space:  global
        .offset:         16
        .size:           8
        .value_kind:     global_buffer
      - .actual_access:  read_only
        .address_space:  global
        .offset:         24
        .size:           8
        .value_kind:     global_buffer
      - .offset:         32
        .size:           8
        .value_kind:     by_value
      - .actual_access:  read_only
        .address_space:  global
        .offset:         40
        .size:           8
        .value_kind:     global_buffer
      - .actual_access:  read_only
        .address_space:  global
        .offset:         48
        .size:           8
        .value_kind:     global_buffer
      - .offset:         56
        .size:           4
        .value_kind:     by_value
      - .actual_access:  read_only
        .address_space:  global
        .offset:         64
        .size:           8
        .value_kind:     global_buffer
      - .actual_access:  read_only
        .address_space:  global
        .offset:         72
        .size:           8
        .value_kind:     global_buffer
      - .address_space:  global
        .offset:         80
        .size:           8
        .value_kind:     global_buffer
    .group_segment_fixed_size: 0
    .kernarg_segment_align: 8
    .kernarg_segment_size: 88
    .language:       OpenCL C
    .language_version:
      - 2
      - 0
    .max_flat_workgroup_size: 204
    .name:           fft_rtc_fwd_len884_factors_13_4_17_wgs_204_tpt_68_halfLds_dp_ip_CI_unitstride_sbrr_C2R_dirReg
    .private_segment_fixed_size: 0
    .sgpr_count:     60
    .sgpr_spill_count: 0
    .symbol:         fft_rtc_fwd_len884_factors_13_4_17_wgs_204_tpt_68_halfLds_dp_ip_CI_unitstride_sbrr_C2R_dirReg.kd
    .uniform_work_group_size: 1
    .uses_dynamic_stack: false
    .vgpr_count:     230
    .vgpr_spill_count: 0
    .wavefront_size: 64
amdhsa.target:   amdgcn-amd-amdhsa--gfx906
amdhsa.version:
  - 1
  - 2
...

	.end_amdgpu_metadata
